;; amdgpu-corpus repo=ROCm/rocFFT kind=compiled arch=gfx1030 opt=O3
	.text
	.amdgcn_target "amdgcn-amd-amdhsa--gfx1030"
	.amdhsa_code_object_version 6
	.protected	fft_rtc_back_len3750_factors_3_5_5_10_5_wgs_125_tpt_125_halfLds_half_ip_CI_unitstride_sbrr_C2R_dirReg ; -- Begin function fft_rtc_back_len3750_factors_3_5_5_10_5_wgs_125_tpt_125_halfLds_half_ip_CI_unitstride_sbrr_C2R_dirReg
	.globl	fft_rtc_back_len3750_factors_3_5_5_10_5_wgs_125_tpt_125_halfLds_half_ip_CI_unitstride_sbrr_C2R_dirReg
	.p2align	8
	.type	fft_rtc_back_len3750_factors_3_5_5_10_5_wgs_125_tpt_125_halfLds_half_ip_CI_unitstride_sbrr_C2R_dirReg,@function
fft_rtc_back_len3750_factors_3_5_5_10_5_wgs_125_tpt_125_halfLds_half_ip_CI_unitstride_sbrr_C2R_dirReg: ; @fft_rtc_back_len3750_factors_3_5_5_10_5_wgs_125_tpt_125_halfLds_half_ip_CI_unitstride_sbrr_C2R_dirReg
; %bb.0:
	s_clause 0x2
	s_load_dwordx4 s[8:11], s[4:5], 0x0
	s_load_dwordx2 s[2:3], s[4:5], 0x50
	s_load_dwordx2 s[12:13], s[4:5], 0x18
	v_mul_u32_u24_e32 v1, 0x20d, v0
	v_mov_b32_e32 v3, 0
	v_add_nc_u32_sdwa v5, s6, v1 dst_sel:DWORD dst_unused:UNUSED_PAD src0_sel:DWORD src1_sel:WORD_1
	v_mov_b32_e32 v1, 0
	v_mov_b32_e32 v6, v3
	v_mov_b32_e32 v2, 0
	s_waitcnt lgkmcnt(0)
	v_cmp_lt_u64_e64 s0, s[10:11], 2
	s_and_b32 vcc_lo, exec_lo, s0
	s_cbranch_vccnz .LBB0_8
; %bb.1:
	s_load_dwordx2 s[0:1], s[4:5], 0x10
	v_mov_b32_e32 v1, 0
	s_add_u32 s6, s12, 8
	v_mov_b32_e32 v2, 0
	s_addc_u32 s7, s13, 0
	s_mov_b64 s[16:17], 1
	s_waitcnt lgkmcnt(0)
	s_add_u32 s14, s0, 8
	s_addc_u32 s15, s1, 0
.LBB0_2:                                ; =>This Inner Loop Header: Depth=1
	s_load_dwordx2 s[18:19], s[14:15], 0x0
                                        ; implicit-def: $vgpr7_vgpr8
	s_mov_b32 s0, exec_lo
	s_waitcnt lgkmcnt(0)
	v_or_b32_e32 v4, s19, v6
	v_cmpx_ne_u64_e32 0, v[3:4]
	s_xor_b32 s1, exec_lo, s0
	s_cbranch_execz .LBB0_4
; %bb.3:                                ;   in Loop: Header=BB0_2 Depth=1
	v_cvt_f32_u32_e32 v4, s18
	v_cvt_f32_u32_e32 v7, s19
	s_sub_u32 s0, 0, s18
	s_subb_u32 s20, 0, s19
	v_fmac_f32_e32 v4, 0x4f800000, v7
	v_rcp_f32_e32 v4, v4
	v_mul_f32_e32 v4, 0x5f7ffffc, v4
	v_mul_f32_e32 v7, 0x2f800000, v4
	v_trunc_f32_e32 v7, v7
	v_fmac_f32_e32 v4, 0xcf800000, v7
	v_cvt_u32_f32_e32 v7, v7
	v_cvt_u32_f32_e32 v4, v4
	v_mul_lo_u32 v8, s0, v7
	v_mul_hi_u32 v9, s0, v4
	v_mul_lo_u32 v10, s20, v4
	v_add_nc_u32_e32 v8, v9, v8
	v_mul_lo_u32 v9, s0, v4
	v_add_nc_u32_e32 v8, v8, v10
	v_mul_hi_u32 v10, v4, v9
	v_mul_lo_u32 v11, v4, v8
	v_mul_hi_u32 v12, v4, v8
	v_mul_hi_u32 v13, v7, v9
	v_mul_lo_u32 v9, v7, v9
	v_mul_hi_u32 v14, v7, v8
	v_mul_lo_u32 v8, v7, v8
	v_add_co_u32 v10, vcc_lo, v10, v11
	v_add_co_ci_u32_e32 v11, vcc_lo, 0, v12, vcc_lo
	v_add_co_u32 v9, vcc_lo, v10, v9
	v_add_co_ci_u32_e32 v9, vcc_lo, v11, v13, vcc_lo
	v_add_co_ci_u32_e32 v10, vcc_lo, 0, v14, vcc_lo
	v_add_co_u32 v8, vcc_lo, v9, v8
	v_add_co_ci_u32_e32 v9, vcc_lo, 0, v10, vcc_lo
	v_add_co_u32 v4, vcc_lo, v4, v8
	v_add_co_ci_u32_e32 v7, vcc_lo, v7, v9, vcc_lo
	v_mul_hi_u32 v8, s0, v4
	v_mul_lo_u32 v10, s20, v4
	v_mul_lo_u32 v9, s0, v7
	v_add_nc_u32_e32 v8, v8, v9
	v_mul_lo_u32 v9, s0, v4
	v_add_nc_u32_e32 v8, v8, v10
	v_mul_hi_u32 v10, v4, v9
	v_mul_lo_u32 v11, v4, v8
	v_mul_hi_u32 v12, v4, v8
	v_mul_hi_u32 v13, v7, v9
	v_mul_lo_u32 v9, v7, v9
	v_mul_hi_u32 v14, v7, v8
	v_mul_lo_u32 v8, v7, v8
	v_add_co_u32 v10, vcc_lo, v10, v11
	v_add_co_ci_u32_e32 v11, vcc_lo, 0, v12, vcc_lo
	v_add_co_u32 v9, vcc_lo, v10, v9
	v_add_co_ci_u32_e32 v9, vcc_lo, v11, v13, vcc_lo
	v_add_co_ci_u32_e32 v10, vcc_lo, 0, v14, vcc_lo
	v_add_co_u32 v8, vcc_lo, v9, v8
	v_add_co_ci_u32_e32 v9, vcc_lo, 0, v10, vcc_lo
	v_add_co_u32 v4, vcc_lo, v4, v8
	v_add_co_ci_u32_e32 v11, vcc_lo, v7, v9, vcc_lo
	v_mul_hi_u32 v13, v5, v4
	v_mad_u64_u32 v[9:10], null, v6, v4, 0
	v_mad_u64_u32 v[7:8], null, v5, v11, 0
	;; [unrolled: 1-line block ×3, first 2 shown]
	v_add_co_u32 v4, vcc_lo, v13, v7
	v_add_co_ci_u32_e32 v7, vcc_lo, 0, v8, vcc_lo
	v_add_co_u32 v4, vcc_lo, v4, v9
	v_add_co_ci_u32_e32 v4, vcc_lo, v7, v10, vcc_lo
	v_add_co_ci_u32_e32 v7, vcc_lo, 0, v12, vcc_lo
	v_add_co_u32 v4, vcc_lo, v4, v11
	v_add_co_ci_u32_e32 v9, vcc_lo, 0, v7, vcc_lo
	v_mul_lo_u32 v10, s19, v4
	v_mad_u64_u32 v[7:8], null, s18, v4, 0
	v_mul_lo_u32 v11, s18, v9
	v_sub_co_u32 v7, vcc_lo, v5, v7
	v_add3_u32 v8, v8, v11, v10
	v_sub_nc_u32_e32 v10, v6, v8
	v_subrev_co_ci_u32_e64 v10, s0, s19, v10, vcc_lo
	v_add_co_u32 v11, s0, v4, 2
	v_add_co_ci_u32_e64 v12, s0, 0, v9, s0
	v_sub_co_u32 v13, s0, v7, s18
	v_sub_co_ci_u32_e32 v8, vcc_lo, v6, v8, vcc_lo
	v_subrev_co_ci_u32_e64 v10, s0, 0, v10, s0
	v_cmp_le_u32_e32 vcc_lo, s18, v13
	v_cmp_eq_u32_e64 s0, s19, v8
	v_cndmask_b32_e64 v13, 0, -1, vcc_lo
	v_cmp_le_u32_e32 vcc_lo, s19, v10
	v_cndmask_b32_e64 v14, 0, -1, vcc_lo
	v_cmp_le_u32_e32 vcc_lo, s18, v7
	;; [unrolled: 2-line block ×3, first 2 shown]
	v_cndmask_b32_e64 v15, 0, -1, vcc_lo
	v_cmp_eq_u32_e32 vcc_lo, s19, v10
	v_cndmask_b32_e64 v7, v15, v7, s0
	v_cndmask_b32_e32 v10, v14, v13, vcc_lo
	v_add_co_u32 v13, vcc_lo, v4, 1
	v_add_co_ci_u32_e32 v14, vcc_lo, 0, v9, vcc_lo
	v_cmp_ne_u32_e32 vcc_lo, 0, v10
	v_cndmask_b32_e32 v8, v14, v12, vcc_lo
	v_cndmask_b32_e32 v10, v13, v11, vcc_lo
	v_cmp_ne_u32_e32 vcc_lo, 0, v7
	v_cndmask_b32_e32 v8, v9, v8, vcc_lo
	v_cndmask_b32_e32 v7, v4, v10, vcc_lo
.LBB0_4:                                ;   in Loop: Header=BB0_2 Depth=1
	s_andn2_saveexec_b32 s0, s1
	s_cbranch_execz .LBB0_6
; %bb.5:                                ;   in Loop: Header=BB0_2 Depth=1
	v_cvt_f32_u32_e32 v4, s18
	s_sub_i32 s1, 0, s18
	v_rcp_iflag_f32_e32 v4, v4
	v_mul_f32_e32 v4, 0x4f7ffffe, v4
	v_cvt_u32_f32_e32 v4, v4
	v_mul_lo_u32 v7, s1, v4
	v_mul_hi_u32 v7, v4, v7
	v_add_nc_u32_e32 v4, v4, v7
	v_mul_hi_u32 v4, v5, v4
	v_mul_lo_u32 v7, v4, s18
	v_add_nc_u32_e32 v8, 1, v4
	v_sub_nc_u32_e32 v7, v5, v7
	v_subrev_nc_u32_e32 v9, s18, v7
	v_cmp_le_u32_e32 vcc_lo, s18, v7
	v_cndmask_b32_e32 v7, v7, v9, vcc_lo
	v_cndmask_b32_e32 v4, v4, v8, vcc_lo
	v_cmp_le_u32_e32 vcc_lo, s18, v7
	v_add_nc_u32_e32 v8, 1, v4
	v_cndmask_b32_e32 v7, v4, v8, vcc_lo
	v_mov_b32_e32 v8, v3
.LBB0_6:                                ;   in Loop: Header=BB0_2 Depth=1
	s_or_b32 exec_lo, exec_lo, s0
	s_load_dwordx2 s[0:1], s[6:7], 0x0
	v_mul_lo_u32 v4, v8, s18
	v_mul_lo_u32 v11, v7, s19
	v_mad_u64_u32 v[9:10], null, v7, s18, 0
	s_add_u32 s16, s16, 1
	s_addc_u32 s17, s17, 0
	s_add_u32 s6, s6, 8
	s_addc_u32 s7, s7, 0
	;; [unrolled: 2-line block ×3, first 2 shown]
	v_add3_u32 v4, v10, v11, v4
	v_sub_co_u32 v5, vcc_lo, v5, v9
	v_sub_co_ci_u32_e32 v4, vcc_lo, v6, v4, vcc_lo
	s_waitcnt lgkmcnt(0)
	v_mul_lo_u32 v6, s1, v5
	v_mul_lo_u32 v4, s0, v4
	v_mad_u64_u32 v[1:2], null, s0, v5, v[1:2]
	v_cmp_ge_u64_e64 s0, s[16:17], s[10:11]
	s_and_b32 vcc_lo, exec_lo, s0
	v_add3_u32 v2, v6, v2, v4
	s_cbranch_vccnz .LBB0_9
; %bb.7:                                ;   in Loop: Header=BB0_2 Depth=1
	v_mov_b32_e32 v5, v7
	v_mov_b32_e32 v6, v8
	s_branch .LBB0_2
.LBB0_8:
	v_mov_b32_e32 v8, v6
	v_mov_b32_e32 v7, v5
.LBB0_9:
	s_lshl_b64 s[0:1], s[10:11], 3
	v_mul_hi_u32 v5, 0x20c49bb, v0
	s_add_u32 s0, s12, s0
	s_addc_u32 s1, s13, s1
	s_load_dwordx2 s[0:1], s[0:1], 0x0
	s_load_dwordx2 s[4:5], s[4:5], 0x20
	s_waitcnt lgkmcnt(0)
	v_mul_lo_u32 v3, s0, v8
	v_mul_lo_u32 v4, s1, v7
	v_mad_u64_u32 v[1:2], null, s0, v7, v[1:2]
	v_cmp_gt_u64_e32 vcc_lo, s[4:5], v[7:8]
	v_add3_u32 v2, v4, v2, v3
	v_mul_u32_u24_e32 v3, 0x7d, v5
	v_lshlrev_b64 v[26:27], 2, v[1:2]
	v_sub_nc_u32_e32 v24, v0, v3
	s_and_saveexec_b32 s1, vcc_lo
	s_cbranch_execz .LBB0_13
; %bb.10:
	v_mov_b32_e32 v25, 0
	v_add_co_u32 v0, s0, s2, v26
	v_add_co_ci_u32_e64 v1, s0, s3, v27, s0
	v_lshlrev_b64 v[2:3], 2, v[24:25]
	v_add_co_u32 v2, s0, v0, v2
	v_add_co_ci_u32_e64 v3, s0, v1, v3, s0
	v_add_co_u32 v4, s0, 0x800, v2
	v_add_co_ci_u32_e64 v5, s0, 0, v3, s0
	;; [unrolled: 2-line block ×4, first 2 shown]
	s_clause 0xf
	global_load_dword v10, v[2:3], off
	global_load_dword v11, v[2:3], off offset:500
	global_load_dword v12, v[2:3], off offset:1000
	;; [unrolled: 1-line block ×15, first 2 shown]
	v_add_co_u32 v4, s0, 0x2000, v2
	v_add_co_ci_u32_e64 v5, s0, 0, v3, s0
	v_add_co_u32 v6, s0, 0x2800, v2
	v_add_co_ci_u32_e64 v7, s0, 0, v3, s0
	s_clause 0x7
	global_load_dword v8, v[8:9], off offset:1856
	global_load_dword v9, v[4:5], off offset:308
	;; [unrolled: 1-line block ×8, first 2 shown]
	v_add_co_u32 v4, s0, 0x3000, v2
	v_add_co_ci_u32_e64 v5, s0, 0, v3, s0
	v_add_co_u32 v2, s0, 0x3800, v2
	v_add_co_ci_u32_e64 v3, s0, 0, v3, s0
	s_clause 0x5
	global_load_dword v6, v[6:7], off offset:1760
	global_load_dword v7, v[4:5], off offset:212
	global_load_dword v36, v[4:5], off offset:712
	global_load_dword v37, v[4:5], off offset:1212
	global_load_dword v4, v[4:5], off offset:1712
	global_load_dword v2, v[2:3], off offset:164
	v_lshl_add_u32 v3, v24, 2, 0
	v_cmp_eq_u32_e64 s0, 0x7c, v24
	v_add_nc_u32_e32 v5, 0x200, v3
	v_add_nc_u32_e32 v38, 0x600, v3
	;; [unrolled: 1-line block ×14, first 2 shown]
	s_waitcnt vmcnt(28)
	ds_write2_b32 v3, v10, v11 offset1:125
	s_waitcnt vmcnt(26)
	ds_write2_b32 v5, v12, v13 offset0:122 offset1:247
	s_waitcnt vmcnt(24)
	ds_write2_b32 v38, v14, v15 offset0:116 offset1:241
	;; [unrolled: 2-line block ×14, first 2 shown]
	s_and_saveexec_b32 s4, s0
	s_cbranch_execz .LBB0_12
; %bb.11:
	v_add_co_u32 v0, s0, 0x3800, v0
	v_add_co_ci_u32_e64 v1, s0, 0, v1, s0
	v_mov_b32_e32 v24, 0x7c
	global_load_dword v0, v[0:1], off offset:664
	s_waitcnt vmcnt(0)
	ds_write_b32 v25, v0 offset:15000
.LBB0_12:
	s_or_b32 exec_lo, exec_lo, s4
.LBB0_13:
	s_or_b32 exec_lo, exec_lo, s1
	v_lshlrev_b32_e32 v28, 2, v24
	s_waitcnt lgkmcnt(0)
	s_barrier
	buffer_gl0_inv
	s_add_u32 s1, s8, 0x3a8c
	v_add_nc_u32_e32 v33, 0, v28
	v_sub_nc_u32_e32 v2, 0, v28
	s_addc_u32 s4, s9, 0
	s_mov_b32 s5, exec_lo
                                        ; implicit-def: $vgpr0_vgpr1
	ds_read_u16 v5, v33
	ds_read_u16 v6, v2 offset:15000
	s_waitcnt lgkmcnt(0)
	v_add_f16_e32 v4, v6, v5
	v_sub_f16_e32 v3, v5, v6
	v_cmpx_ne_u32_e32 0, v24
	s_xor_b32 s5, exec_lo, s5
	s_cbranch_execz .LBB0_15
; %bb.14:
	v_mov_b32_e32 v25, 0
	v_add_f16_e32 v4, v6, v5
	v_sub_f16_e32 v5, v5, v6
	v_lshlrev_b64 v[0:1], 2, v[24:25]
	v_add_co_u32 v0, s0, s1, v0
	v_add_co_ci_u32_e64 v1, s0, s4, v1, s0
	global_load_dword v0, v[0:1], off
	ds_read_u16 v1, v2 offset:15002
	ds_read_u16 v3, v33 offset:2
	s_waitcnt lgkmcnt(0)
	v_add_f16_e32 v6, v1, v3
	v_sub_f16_e32 v1, v3, v1
	s_waitcnt vmcnt(0)
	v_lshrrev_b32_e32 v7, 16, v0
	v_fma_f16 v8, -v5, v7, v4
	v_fma_f16 v9, v6, v7, -v1
	v_fma_f16 v3, v6, v7, v1
	v_fma_f16 v4, v5, v7, v4
	v_fmac_f16_e32 v8, v0, v6
	v_fmac_f16_e32 v9, v5, v0
	;; [unrolled: 1-line block ×3, first 2 shown]
	v_fma_f16 v4, -v0, v6, v4
	v_mov_b32_e32 v0, v24
	v_mov_b32_e32 v1, v25
	v_pack_b32_f16 v5, v8, v9
	ds_write_b32 v2, v5 offset:15000
.LBB0_15:
	s_andn2_saveexec_b32 s0, s5
	s_cbranch_execz .LBB0_17
; %bb.16:
	v_mov_b32_e32 v5, 0
	ds_read_b32 v0, v5 offset:7500
	s_waitcnt lgkmcnt(0)
	v_pk_mul_f16 v6, 0xc0004000, v0
	v_mov_b32_e32 v0, 0
	v_mov_b32_e32 v1, 0
	ds_write_b32 v5, v6 offset:7500
.LBB0_17:
	s_or_b32 exec_lo, exec_lo, s0
	v_lshlrev_b64 v[0:1], 2, v[0:1]
	v_perm_b32 v3, v3, v4, 0x5040100
	v_and_b32_e32 v30, 0xff, v24
	v_add_nc_u32_e32 v47, 0x7d, v24
	v_add_nc_u32_e32 v48, 0xfa, v24
	v_mov_b32_e32 v52, 0xaaab
	v_add_co_u32 v0, s0, s1, v0
	v_add_co_ci_u32_e64 v1, s0, s4, v1, s0
	v_and_b32_e32 v53, 0xff, v47
	v_add_co_u32 v5, s0, 0x800, v0
	s_clause 0x3
	global_load_dword v7, v[0:1], off offset:500
	global_load_dword v8, v[0:1], off offset:1000
	;; [unrolled: 1-line block ×4, first 2 shown]
	v_add_co_ci_u32_e64 v6, s0, 0, v1, s0
	v_add_nc_u32_e32 v25, 0x1200, v33
	v_add_nc_u32_e32 v34, 0x2600, v33
	s_clause 0x2
	global_load_dword v11, v[5:6], off offset:452
	global_load_dword v12, v[5:6], off offset:952
	;; [unrolled: 1-line block ×3, first 2 shown]
	ds_write_b32 v33, v3
	ds_read_b32 v3, v33 offset:500
	ds_read_b32 v4, v2 offset:14500
	global_load_dword v5, v[5:6], off offset:1952
	v_add_nc_u32_e32 v35, 0x200, v33
	v_add_nc_u32_e32 v44, 0x1600, v33
	;; [unrolled: 1-line block ×13, first 2 shown]
	v_mov_b32_e32 v29, 4
	s_waitcnt lgkmcnt(0)
	v_add_f16_e32 v6, v3, v4
	v_add_f16_sdwa v14, v4, v3 dst_sel:DWORD dst_unused:UNUSED_PAD src0_sel:WORD_1 src1_sel:WORD_1
	v_sub_f16_e32 v15, v3, v4
	v_sub_f16_sdwa v3, v3, v4 dst_sel:DWORD dst_unused:UNUSED_PAD src0_sel:WORD_1 src1_sel:WORD_1
	s_waitcnt vmcnt(7)
	v_lshrrev_b32_e32 v16, 16, v7
	v_fma_f16 v4, v15, v16, v6
	v_fma_f16 v17, v14, v16, v3
	v_fma_f16 v6, -v15, v16, v6
	v_fma_f16 v3, v14, v16, -v3
	v_fma_f16 v4, -v7, v14, v4
	v_fmac_f16_e32 v17, v15, v7
	v_fmac_f16_e32 v6, v7, v14
	;; [unrolled: 1-line block ×3, first 2 shown]
	s_waitcnt vmcnt(6)
	v_lshrrev_b32_e32 v14, 16, v8
	v_pack_b32_f16 v4, v4, v17
	v_pack_b32_f16 v3, v6, v3
	ds_write_b32 v33, v4 offset:500
	ds_write_b32 v2, v3 offset:14500
	ds_read_b32 v6, v33 offset:1000
	ds_read_b32 v7, v2 offset:14000
	v_add_co_u32 v3, s0, 0x1000, v0
	v_add_co_ci_u32_e64 v4, s0, 0, v1, s0
	v_add_co_u32 v0, s0, 0x1800, v0
	v_add_co_ci_u32_e64 v1, s0, 0, v1, s0
	v_cmp_gt_u32_e64 s0, 0x4b, v24
	s_waitcnt lgkmcnt(0)
	v_add_f16_e32 v15, v6, v7
	v_add_f16_sdwa v16, v7, v6 dst_sel:DWORD dst_unused:UNUSED_PAD src0_sel:WORD_1 src1_sel:WORD_1
	v_sub_f16_e32 v17, v6, v7
	v_sub_f16_sdwa v6, v6, v7 dst_sel:DWORD dst_unused:UNUSED_PAD src0_sel:WORD_1 src1_sel:WORD_1
	global_load_dword v7, v[3:4], off offset:404
	v_fma_f16 v18, v17, v14, v15
	v_fma_f16 v19, v16, v14, v6
	v_fma_f16 v15, -v17, v14, v15
	v_fma_f16 v6, v16, v14, -v6
	v_fma_f16 v14, -v8, v16, v18
	v_fmac_f16_e32 v19, v17, v8
	v_fmac_f16_e32 v15, v8, v16
	v_fmac_f16_e32 v6, v17, v8
	v_pack_b32_f16 v8, v14, v19
	s_waitcnt vmcnt(6)
	v_lshrrev_b32_e32 v14, 16, v9
	v_pack_b32_f16 v6, v15, v6
	ds_write_b32 v33, v8 offset:1000
	ds_write_b32 v2, v6 offset:14000
	ds_read_b32 v6, v33 offset:1500
	ds_read_b32 v8, v2 offset:13500
	s_waitcnt lgkmcnt(0)
	v_add_f16_e32 v15, v6, v8
	v_add_f16_sdwa v16, v8, v6 dst_sel:DWORD dst_unused:UNUSED_PAD src0_sel:WORD_1 src1_sel:WORD_1
	v_sub_f16_e32 v17, v6, v8
	v_sub_f16_sdwa v6, v6, v8 dst_sel:DWORD dst_unused:UNUSED_PAD src0_sel:WORD_1 src1_sel:WORD_1
	global_load_dword v8, v[3:4], off offset:904
	v_fma_f16 v18, v17, v14, v15
	v_fma_f16 v19, v16, v14, v6
	v_fma_f16 v15, -v17, v14, v15
	v_fma_f16 v6, v16, v14, -v6
	v_fma_f16 v14, -v9, v16, v18
	v_fmac_f16_e32 v19, v17, v9
	v_fmac_f16_e32 v15, v9, v16
	v_fmac_f16_e32 v6, v17, v9
	v_pack_b32_f16 v9, v14, v19
	s_waitcnt vmcnt(6)
	v_lshrrev_b32_e32 v14, 16, v10
	v_pack_b32_f16 v6, v15, v6
	ds_write_b32 v33, v9 offset:1500
	ds_write_b32 v2, v6 offset:13500
	ds_read_b32 v6, v33 offset:2000
	ds_read_b32 v9, v2 offset:13000
	s_waitcnt lgkmcnt(0)
	v_add_f16_e32 v15, v6, v9
	v_add_f16_sdwa v16, v9, v6 dst_sel:DWORD dst_unused:UNUSED_PAD src0_sel:WORD_1 src1_sel:WORD_1
	v_sub_f16_e32 v17, v6, v9
	v_sub_f16_sdwa v6, v6, v9 dst_sel:DWORD dst_unused:UNUSED_PAD src0_sel:WORD_1 src1_sel:WORD_1
	global_load_dword v9, v[3:4], off offset:1404
	v_fma_f16 v18, v17, v14, v15
	v_fma_f16 v19, v16, v14, v6
	v_fma_f16 v15, -v17, v14, v15
	v_fma_f16 v6, v16, v14, -v6
	v_fma_f16 v14, -v10, v16, v18
	v_fmac_f16_e32 v19, v17, v10
	v_fmac_f16_e32 v15, v10, v16
	v_fmac_f16_e32 v6, v17, v10
	v_pack_b32_f16 v10, v14, v19
	s_waitcnt vmcnt(6)
	v_lshrrev_b32_e32 v14, 16, v11
	v_pack_b32_f16 v6, v15, v6
	ds_write_b32 v33, v10 offset:2000
	ds_write_b32 v2, v6 offset:13000
	ds_read_b32 v6, v33 offset:2500
	ds_read_b32 v10, v2 offset:12500
	global_load_dword v3, v[3:4], off offset:1904
	s_waitcnt lgkmcnt(0)
	v_add_f16_e32 v15, v6, v10
	v_add_f16_sdwa v16, v10, v6 dst_sel:DWORD dst_unused:UNUSED_PAD src0_sel:WORD_1 src1_sel:WORD_1
	v_sub_f16_e32 v17, v6, v10
	v_sub_f16_sdwa v6, v6, v10 dst_sel:DWORD dst_unused:UNUSED_PAD src0_sel:WORD_1 src1_sel:WORD_1
	v_fma_f16 v4, v17, v14, v15
	v_fma_f16 v10, v16, v14, v6
	v_fma_f16 v15, -v17, v14, v15
	v_fma_f16 v6, v16, v14, -v6
	v_fma_f16 v4, -v11, v16, v4
	v_fmac_f16_e32 v10, v17, v11
	v_fmac_f16_e32 v15, v11, v16
	;; [unrolled: 1-line block ×3, first 2 shown]
	v_pack_b32_f16 v4, v4, v10
	s_waitcnt vmcnt(6)
	v_lshrrev_b32_e32 v10, 16, v12
	v_pack_b32_f16 v6, v15, v6
	ds_write_b32 v33, v4 offset:2500
	ds_write_b32 v2, v6 offset:12500
	ds_read_b32 v4, v33 offset:3000
	ds_read_b32 v6, v2 offset:12000
	s_waitcnt lgkmcnt(0)
	v_add_f16_e32 v11, v4, v6
	v_add_f16_sdwa v14, v6, v4 dst_sel:DWORD dst_unused:UNUSED_PAD src0_sel:WORD_1 src1_sel:WORD_1
	v_sub_f16_e32 v15, v4, v6
	v_sub_f16_sdwa v4, v4, v6 dst_sel:DWORD dst_unused:UNUSED_PAD src0_sel:WORD_1 src1_sel:WORD_1
	global_load_dword v6, v[0:1], off offset:356
	v_fma_f16 v16, v15, v10, v11
	v_fma_f16 v17, v14, v10, v4
	v_fma_f16 v11, -v15, v10, v11
	v_fma_f16 v4, v14, v10, -v4
	v_fma_f16 v10, -v12, v14, v16
	v_fmac_f16_e32 v17, v15, v12
	v_fmac_f16_e32 v11, v12, v14
	;; [unrolled: 1-line block ×3, first 2 shown]
	v_pack_b32_f16 v10, v10, v17
	v_pack_b32_f16 v4, v11, v4
	ds_write_b32 v33, v10 offset:3000
	ds_write_b32 v2, v4 offset:12000
	ds_read_b32 v4, v33 offset:3500
	ds_read_b32 v10, v2 offset:11500
	global_load_dword v0, v[0:1], off offset:856
	s_waitcnt vmcnt(7)
	v_lshrrev_b32_e32 v11, 16, v13
	s_waitcnt lgkmcnt(0)
	v_add_f16_e32 v12, v4, v10
	v_add_f16_sdwa v14, v10, v4 dst_sel:DWORD dst_unused:UNUSED_PAD src0_sel:WORD_1 src1_sel:WORD_1
	v_sub_f16_e32 v15, v4, v10
	v_sub_f16_sdwa v4, v4, v10 dst_sel:DWORD dst_unused:UNUSED_PAD src0_sel:WORD_1 src1_sel:WORD_1
	v_fma_f16 v1, v15, v11, v12
	v_fma_f16 v10, v14, v11, v4
	v_fma_f16 v12, -v15, v11, v12
	v_fma_f16 v4, v14, v11, -v4
	v_fma_f16 v1, -v13, v14, v1
	v_fmac_f16_e32 v10, v15, v13
	v_fmac_f16_e32 v12, v13, v14
	;; [unrolled: 1-line block ×3, first 2 shown]
	v_pack_b32_f16 v1, v1, v10
	s_waitcnt vmcnt(6)
	v_lshrrev_b32_e32 v10, 16, v5
	v_pack_b32_f16 v4, v12, v4
	ds_write_b32 v33, v1 offset:3500
	ds_write_b32 v2, v4 offset:11500
	ds_read_b32 v1, v33 offset:4000
	ds_read_b32 v4, v2 offset:11000
	s_waitcnt lgkmcnt(0)
	v_add_f16_e32 v11, v1, v4
	v_add_f16_sdwa v12, v4, v1 dst_sel:DWORD dst_unused:UNUSED_PAD src0_sel:WORD_1 src1_sel:WORD_1
	v_sub_f16_e32 v13, v1, v4
	v_sub_f16_sdwa v1, v1, v4 dst_sel:DWORD dst_unused:UNUSED_PAD src0_sel:WORD_1 src1_sel:WORD_1
	v_fma_f16 v4, v13, v10, v11
	v_fma_f16 v14, v12, v10, v1
	v_fma_f16 v11, -v13, v10, v11
	v_fma_f16 v1, v12, v10, -v1
	v_fma_f16 v4, -v5, v12, v4
	v_fmac_f16_e32 v14, v13, v5
	v_fmac_f16_e32 v11, v5, v12
	;; [unrolled: 1-line block ×3, first 2 shown]
	v_pack_b32_f16 v4, v4, v14
	v_pack_b32_f16 v1, v11, v1
	ds_write_b32 v33, v4 offset:4000
	ds_write_b32 v2, v1 offset:11000
	ds_read_b32 v1, v33 offset:4500
	ds_read_b32 v4, v2 offset:10500
	s_waitcnt lgkmcnt(0)
	v_add_f16_e32 v10, v1, v4
	v_add_f16_sdwa v11, v4, v1 dst_sel:DWORD dst_unused:UNUSED_PAD src0_sel:WORD_1 src1_sel:WORD_1
	v_sub_f16_e32 v12, v1, v4
	v_sub_f16_sdwa v1, v1, v4 dst_sel:DWORD dst_unused:UNUSED_PAD src0_sel:WORD_1 src1_sel:WORD_1
	s_waitcnt vmcnt(5)
	v_lshrrev_b32_e32 v5, 16, v7
	v_fma_f16 v4, v12, v5, v10
	v_fma_f16 v13, v11, v5, v1
	v_fma_f16 v10, -v12, v5, v10
	v_fma_f16 v1, v11, v5, -v1
	v_fma_f16 v4, -v7, v11, v4
	v_fmac_f16_e32 v13, v12, v7
	v_fmac_f16_e32 v10, v7, v11
	;; [unrolled: 1-line block ×3, first 2 shown]
	v_pack_b32_f16 v4, v4, v13
	v_pack_b32_f16 v1, v10, v1
	ds_write_b32 v33, v4 offset:4500
	ds_write_b32 v2, v1 offset:10500
	ds_read_b32 v1, v33 offset:5000
	ds_read_b32 v4, v2 offset:10000
	s_waitcnt lgkmcnt(0)
	v_add_f16_e32 v7, v1, v4
	v_add_f16_sdwa v10, v4, v1 dst_sel:DWORD dst_unused:UNUSED_PAD src0_sel:WORD_1 src1_sel:WORD_1
	s_waitcnt vmcnt(4)
	v_lshrrev_b32_e32 v5, 16, v8
	v_sub_f16_e32 v11, v1, v4
	v_sub_f16_sdwa v1, v1, v4 dst_sel:DWORD dst_unused:UNUSED_PAD src0_sel:WORD_1 src1_sel:WORD_1
	v_fma_f16 v4, v11, v5, v7
	v_fma_f16 v12, v10, v5, v1
	v_fma_f16 v7, -v11, v5, v7
	v_fma_f16 v1, v10, v5, -v1
	v_fma_f16 v4, -v8, v10, v4
	v_fmac_f16_e32 v12, v11, v8
	v_fmac_f16_e32 v7, v8, v10
	;; [unrolled: 1-line block ×3, first 2 shown]
	v_pack_b32_f16 v4, v4, v12
	v_pack_b32_f16 v1, v7, v1
	ds_write_b32 v33, v4 offset:5000
	ds_write_b32 v2, v1 offset:10000
	ds_read_b32 v1, v33 offset:5500
	ds_read_b32 v4, v2 offset:9500
	s_waitcnt lgkmcnt(0)
	v_add_f16_e32 v7, v1, v4
	s_waitcnt vmcnt(3)
	v_lshrrev_b32_e32 v5, 16, v9
	v_add_f16_sdwa v8, v4, v1 dst_sel:DWORD dst_unused:UNUSED_PAD src0_sel:WORD_1 src1_sel:WORD_1
	v_sub_f16_e32 v10, v1, v4
	v_sub_f16_sdwa v1, v1, v4 dst_sel:DWORD dst_unused:UNUSED_PAD src0_sel:WORD_1 src1_sel:WORD_1
	v_fma_f16 v4, v10, v5, v7
	v_fma_f16 v11, v8, v5, v1
	v_fma_f16 v7, -v10, v5, v7
	v_fma_f16 v1, v8, v5, -v1
	v_fma_f16 v4, -v9, v8, v4
	v_fmac_f16_e32 v11, v10, v9
	v_fmac_f16_e32 v7, v9, v8
	;; [unrolled: 1-line block ×3, first 2 shown]
	v_pack_b32_f16 v4, v4, v11
	v_pack_b32_f16 v1, v7, v1
	ds_write_b32 v33, v4 offset:5500
	ds_write_b32 v2, v1 offset:9500
	ds_read_b32 v1, v33 offset:6000
	ds_read_b32 v4, v2 offset:9000
	s_waitcnt vmcnt(2)
	v_lshrrev_b32_e32 v5, 16, v3
	s_waitcnt lgkmcnt(0)
	v_add_f16_e32 v7, v1, v4
	v_add_f16_sdwa v8, v4, v1 dst_sel:DWORD dst_unused:UNUSED_PAD src0_sel:WORD_1 src1_sel:WORD_1
	v_sub_f16_e32 v9, v1, v4
	v_sub_f16_sdwa v1, v1, v4 dst_sel:DWORD dst_unused:UNUSED_PAD src0_sel:WORD_1 src1_sel:WORD_1
	v_fma_f16 v4, v9, v5, v7
	v_fma_f16 v10, v8, v5, v1
	v_fma_f16 v7, -v9, v5, v7
	v_fma_f16 v1, v8, v5, -v1
	v_fma_f16 v4, -v3, v8, v4
	v_fmac_f16_e32 v10, v9, v3
	v_fmac_f16_e32 v7, v3, v8
	;; [unrolled: 1-line block ×3, first 2 shown]
	v_pack_b32_f16 v3, v4, v10
	v_pack_b32_f16 v1, v7, v1
	ds_write_b32 v33, v3 offset:6000
	ds_write_b32 v2, v1 offset:9000
	ds_read_b32 v1, v33 offset:6500
	ds_read_b32 v3, v2 offset:8500
	s_waitcnt vmcnt(1)
	v_lshrrev_b32_e32 v4, 16, v6
	s_waitcnt lgkmcnt(0)
	v_add_f16_e32 v5, v1, v3
	v_add_f16_sdwa v7, v3, v1 dst_sel:DWORD dst_unused:UNUSED_PAD src0_sel:WORD_1 src1_sel:WORD_1
	v_sub_f16_e32 v8, v1, v3
	v_sub_f16_sdwa v3, v1, v3 dst_sel:DWORD dst_unused:UNUSED_PAD src0_sel:WORD_1 src1_sel:WORD_1
	v_mad_u32_u24 v1, v24, 12, 0
	v_fma_f16 v9, v8, v4, v5
	v_fma_f16 v10, v7, v4, v3
	v_fma_f16 v5, -v8, v4, v5
	v_fma_f16 v3, v7, v4, -v3
	v_add_nc_u32_e32 v63, 0x5dc, v1
	v_fma_f16 v4, -v6, v7, v9
	v_fmac_f16_e32 v10, v8, v6
	v_fmac_f16_e32 v5, v6, v7
	;; [unrolled: 1-line block ×3, first 2 shown]
	v_add_nc_u32_e32 v64, 0xbb8, v1
	v_add_nc_u32_e32 v65, 0x1194, v1
	v_pack_b32_f16 v4, v4, v10
	v_add_nc_u32_e32 v66, 0x1770, v1
	v_pack_b32_f16 v3, v5, v3
	ds_write_b32 v33, v4 offset:6500
	ds_write_b32 v2, v3 offset:8500
	ds_read_b32 v3, v33 offset:7000
	ds_read_b32 v4, v2 offset:8000
	v_mul_lo_u16 v5, 0xab, v30
	s_waitcnt vmcnt(0)
	v_lshrrev_b32_e32 v6, 16, v0
	v_add_nc_u32_e32 v67, 0x1d50, v1
	v_add_nc_u32_e32 v68, 0x232c, v1
	;; [unrolled: 1-line block ×3, first 2 shown]
	v_lshrrev_b16 v31, 9, v5
	v_add_nc_u32_e32 v70, 0x2ee0, v1
	s_waitcnt lgkmcnt(0)
	v_add_f16_e32 v7, v3, v4
	v_add_f16_sdwa v8, v4, v3 dst_sel:DWORD dst_unused:UNUSED_PAD src0_sel:WORD_1 src1_sel:WORD_1
	v_sub_f16_e32 v9, v3, v4
	v_sub_f16_sdwa v3, v3, v4 dst_sel:DWORD dst_unused:UNUSED_PAD src0_sel:WORD_1 src1_sel:WORD_1
	v_fma_f16 v4, v9, v6, v7
	v_fma_f16 v5, v8, v6, v3
	v_fma_f16 v7, -v9, v6, v7
	v_fma_f16 v3, v8, v6, -v3
	v_mul_lo_u16 v6, 0xab, v53
	v_fma_f16 v4, -v0, v8, v4
	v_fmac_f16_e32 v5, v9, v0
	v_fmac_f16_e32 v7, v0, v8
	;; [unrolled: 1-line block ×3, first 2 shown]
	v_mul_lo_u16 v8, v31, 3
	v_lshrrev_b16 v32, 9, v6
	v_pack_b32_f16 v4, v4, v5
	v_mul_u32_u24_sdwa v6, v48, v52 dst_sel:DWORD dst_unused:UNUSED_PAD src0_sel:WORD_0 src1_sel:DWORD
	v_pack_b32_f16 v3, v7, v3
	v_sub_nc_u16 v54, v24, v8
	v_mul_lo_u16 v8, v32, 3
	ds_write_b32 v33, v4 offset:7000
	ds_write_b32 v2, v3 offset:8000
	s_waitcnt lgkmcnt(0)
	s_barrier
	buffer_gl0_inv
	s_barrier
	buffer_gl0_inv
	ds_read2_b32 v[2:3], v25 offset0:98 offset1:223
	ds_read2_b32 v[4:5], v34 offset0:68 offset1:193
	v_lshrrev_b32_e32 v56, 17, v6
	ds_read2_b32 v[6:7], v33 offset1:125
	v_sub_nc_u16 v55, v47, v8
	ds_read2_b32 v[8:9], v35 offset0:122 offset1:247
	ds_read2_b32 v[10:11], v44 offset0:92 offset1:217
	;; [unrolled: 1-line block ×12, first 2 shown]
	s_waitcnt lgkmcnt(0)
	s_barrier
	buffer_gl0_inv
	v_add_nc_u32_e32 v0, 0x34c0, v1
	v_lshlrev_b32_sdwa v71, v29, v54 dst_sel:DWORD dst_unused:UNUSED_PAD src0_sel:DWORD src1_sel:BYTE_0
	v_pk_add_f16 v76, v8, v10
	v_pk_add_f16 v77, v10, v12
	v_pk_add_f16 v10, v10, v12 neg_lo:[0,1] neg_hi:[0,1]
	v_pk_add_f16 v78, v9, v11
	v_pk_add_f16 v79, v11, v13
	v_pk_add_f16 v11, v11, v13 neg_lo:[0,1] neg_hi:[0,1]
	v_pk_add_f16 v72, v3, v5
	v_pk_add_f16 v73, v3, v5 neg_lo:[0,1] neg_hi:[0,1]
	v_pk_add_f16 v3, v7, v3
	v_pk_add_f16 v74, v6, v2
	v_pk_add_f16 v75, v2, v4
	v_pk_add_f16 v2, v2, v4 neg_lo:[0,1] neg_hi:[0,1]
	v_pk_add_f16 v80, v14, v16
	v_pk_add_f16 v81, v16, v18
	v_pk_add_f16 v16, v16, v18 neg_lo:[0,1] neg_hi:[0,1]
	v_pk_add_f16 v82, v15, v17
	v_pk_add_f16 v83, v17, v19
	;; [unrolled: 3-line block ×6, first 2 shown]
	v_pk_add_f16 v60, v60, v62 neg_lo:[0,1] neg_hi:[0,1]
	v_pk_fma_f16 v7, v72, 0.5, v7 op_sel_hi:[1,0,1] neg_lo:[1,0,0] neg_hi:[1,0,0]
	v_pk_mul_f16 v72, 0x3aee, v73 op_sel_hi:[0,1]
	v_pk_add_f16 v3, v3, v5
	v_pk_fma_f16 v5, v75, 0.5, v6 op_sel_hi:[1,0,1] neg_lo:[1,0,0] neg_hi:[1,0,0]
	v_pk_mul_f16 v2, 0x3aee, v2 op_sel_hi:[0,1]
	v_pk_fma_f16 v8, v77, 0.5, v8 op_sel_hi:[1,0,1] neg_lo:[1,0,0] neg_hi:[1,0,0]
	v_pk_mul_f16 v10, 0x3aee, v10 op_sel_hi:[0,1]
	v_pk_add_f16 v6, v76, v12
	v_pk_add_f16 v12, v78, v13
	v_pk_fma_f16 v9, v79, 0.5, v9 op_sel_hi:[1,0,1] neg_lo:[1,0,0] neg_hi:[1,0,0]
	v_pk_add_f16 v13, v80, v18
	v_pk_add_f16 v18, v82, v19
	v_pk_fma_f16 v14, v81, 0.5, v14 op_sel_hi:[1,0,1] neg_lo:[1,0,0] neg_hi:[1,0,0]
	v_pk_fma_f16 v15, v83, 0.5, v15 op_sel_hi:[1,0,1] neg_lo:[1,0,0] neg_hi:[1,0,0]
	v_pk_add_f16 v19, v84, v50
	v_pk_add_f16 v50, v86, v51
	v_pk_fma_f16 v20, v85, 0.5, v20 op_sel_hi:[1,0,1] neg_lo:[1,0,0] neg_hi:[1,0,0]
	;; [unrolled: 4-line block ×3, first 2 shown]
	v_pk_fma_f16 v58, v91, 0.5, v58 op_sel_hi:[1,0,1] neg_lo:[1,0,0] neg_hi:[1,0,0]
	v_pk_mul_f16 v11, 0x3aee, v11 op_sel_hi:[0,1]
	v_pk_mul_f16 v16, 0x3aee, v16 op_sel_hi:[0,1]
	;; [unrolled: 1-line block ×7, first 2 shown]
	v_pk_add_f16 v62, v7, v72 op_sel:[0,1] op_sel_hi:[1,0] neg_lo:[0,1] neg_hi:[0,1]
	v_pk_add_f16 v7, v7, v72 op_sel:[0,1] op_sel_hi:[1,0]
	v_pk_add_f16 v72, v5, v2 op_sel:[0,1] op_sel_hi:[1,0] neg_lo:[0,1] neg_hi:[0,1]
	v_pk_add_f16 v2, v5, v2 op_sel:[0,1] op_sel_hi:[1,0]
	;; [unrolled: 2-line block ×9, first 2 shown]
	ds_write_b32 v1, v18 offset:7500
	v_pk_add_f16 v18, v58, v60 op_sel:[0,1] op_sel_hi:[1,0] neg_lo:[0,1] neg_hi:[0,1]
	v_pk_add_f16 v58, v58, v60 op_sel:[0,1] op_sel_hi:[1,0]
	v_bfi_b32 v59, 0xffff, v62, v7
	v_pk_add_f16 v4, v74, v4
	v_bfi_b32 v60, 0xffff, v72, v2
	v_bfi_b32 v2, 0xffff, v2, v72
	;; [unrolled: 1-line block ×19, first 2 shown]
	ds_write2_b32 v63, v3, v59 offset1:1
	ds_write2_b32 v1, v4, v60 offset1:1
	ds_write_b32 v1, v2 offset:8
	ds_write_b32 v1, v7 offset:1508
	ds_write2_b32 v64, v6, v62 offset1:1
	ds_write_b32 v1, v5 offset:3008
	ds_write2_b32 v65, v12, v8 offset1:1
	;; [unrolled: 2-line block ×5, first 2 shown]
	ds_write2_b32 v69, v50, v20 offset1:1
	ds_write_b32 v1, v21 offset:10508
	ds_write2_b32 v70, v51, v22 offset1:1
	ds_write_b32 v1, v23 offset:12008
	ds_write_b32 v1, v61 offset:13500
	ds_write2_b32 v0, v57, v18 offset1:1
	v_mul_u32_u24_sdwa v5, v49, v52 dst_sel:DWORD dst_unused:UNUSED_PAD src0_sel:WORD_0 src1_sel:DWORD
	v_add_nc_u32_e32 v51, 0x1f4, v24
	v_add_nc_u32_e32 v50, 0x271, v24
	s_waitcnt lgkmcnt(0)
	s_barrier
	v_lshrrev_b32_e32 v58, 17, v5
	v_mul_u32_u24_sdwa v13, v51, v52 dst_sel:DWORD dst_unused:UNUSED_PAD src0_sel:WORD_0 src1_sel:DWORD
	buffer_gl0_inv
	global_load_dwordx4 v[0:3], v71, s[8:9]
	v_mul_lo_u16 v4, v56, 3
	v_mul_lo_u16 v12, v58, 3
	v_lshrrev_b32_e32 v60, 17, v13
	v_lshlrev_b32_sdwa v6, v29, v55 dst_sel:DWORD dst_unused:UNUSED_PAD src0_sel:DWORD src1_sel:BYTE_0
	v_mov_b32_e32 v64, 60
	v_sub_nc_u16 v57, v48, v4
	v_sub_nc_u16 v59, v49, v12
	v_mul_lo_u16 v13, v60, 3
	global_load_dwordx4 v[4:7], v6, s[8:9]
	v_mul_lo_u16 v90, 0x89, v30
	v_lshlrev_b32_sdwa v8, v29, v57 dst_sel:DWORD dst_unused:UNUSED_PAD src0_sel:DWORD src1_sel:WORD_0
	v_lshlrev_b32_sdwa v12, v29, v59 dst_sel:DWORD dst_unused:UNUSED_PAD src0_sel:DWORD src1_sel:WORD_0
	v_sub_nc_u16 v61, v51, v13
	v_mul_u32_u24_sdwa v30, v31, v64 dst_sel:DWORD dst_unused:UNUSED_PAD src0_sel:WORD_0 src1_sel:DWORD
	v_mul_u32_u24_e32 v56, 60, v56
	s_clause 0x1
	global_load_dwordx4 v[8:11], v8, s[8:9]
	global_load_dwordx4 v[16:19], v12, s[8:9]
	v_mul_u32_u24_sdwa v12, v50, v52 dst_sel:DWORD dst_unused:UNUSED_PAD src0_sel:WORD_0 src1_sel:DWORD
	v_mov_b32_e32 v52, 2
	v_mul_u32_u24_e32 v58, 60, v58
	v_mul_u32_u24_e32 v68, 60, v60
	v_mul_u32_u24_sdwa v64, v32, v64 dst_sel:DWORD dst_unused:UNUSED_PAD src0_sel:WORD_0 src1_sel:DWORD
	v_lshrrev_b32_e32 v62, 17, v12
	v_lshlrev_b32_sdwa v12, v29, v61 dst_sel:DWORD dst_unused:UNUSED_PAD src0_sel:DWORD src1_sel:WORD_0
	v_lshlrev_b32_sdwa v31, v52, v54 dst_sel:DWORD dst_unused:UNUSED_PAD src0_sel:DWORD src1_sel:BYTE_0
	v_lshlrev_b32_sdwa v57, v52, v57 dst_sel:DWORD dst_unused:UNUSED_PAD src0_sel:DWORD src1_sel:WORD_0
	v_lshlrev_b32_sdwa v70, v52, v59 dst_sel:DWORD dst_unused:UNUSED_PAD src0_sel:DWORD src1_sel:WORD_0
	v_mul_lo_u16 v13, v62, 3
	global_load_dwordx4 v[20:23], v12, s[8:9]
	v_mul_u32_u24_e32 v69, 60, v62
	v_lshlrev_b32_sdwa v61, v52, v61 dst_sel:DWORD dst_unused:UNUSED_PAD src0_sel:DWORD src1_sel:WORD_0
	v_add3_u32 v59, 0, v30, v31
	v_sub_nc_u16 v63, v50, v13
	v_lshlrev_b32_sdwa v76, v52, v55 dst_sel:DWORD dst_unused:UNUSED_PAD src0_sel:DWORD src1_sel:BYTE_0
	v_add3_u32 v60, 0, v56, v57
	v_add3_u32 v58, 0, v58, v70
	;; [unrolled: 1-line block ×3, first 2 shown]
	v_lshlrev_b32_sdwa v12, v29, v63 dst_sel:DWORD dst_unused:UNUSED_PAD src0_sel:DWORD src1_sel:WORD_0
	v_lshlrev_b32_sdwa v71, v52, v63 dst_sel:DWORD dst_unused:UNUSED_PAD src0_sel:DWORD src1_sel:WORD_0
	v_add3_u32 v61, 0, v64, v76
	v_mov_b32_e32 v65, 0x8889
	global_load_dwordx4 v[12:15], v12, s[8:9]
	ds_read2_b32 v[31:32], v46 offset0:110 offset1:235
	ds_read2_b32 v[54:55], v44 offset0:92 offset1:217
	;; [unrolled: 1-line block ×4, first 2 shown]
	v_add3_u32 v30, 0, v69, v71
	ds_read2_b32 v[68:69], v43 offset0:104 offset1:229
	ds_read2_b32 v[70:71], v38 offset0:86 offset1:211
	;; [unrolled: 1-line block ×8, first 2 shown]
	ds_read2_b32 v[84:85], v33 offset1:125
	ds_read2_b32 v[86:87], v35 offset0:122 offset1:247
	ds_read2_b32 v[88:89], v37 offset0:116 offset1:241
	s_waitcnt vmcnt(0) lgkmcnt(0)
	s_barrier
	buffer_gl0_inv
	v_lshrrev_b32_e32 v56, 16, v31
	v_lshrrev_b32_e32 v64, 16, v54
	;; [unrolled: 1-line block ×30, first 2 shown]
	v_mul_f16_sdwa v119, v0, v31 dst_sel:DWORD dst_unused:UNUSED_PAD src0_sel:WORD_1 src1_sel:DWORD
	v_mul_f16_sdwa v120, v0, v56 dst_sel:DWORD dst_unused:UNUSED_PAD src0_sel:WORD_1 src1_sel:DWORD
	v_mul_f16_sdwa v121, v54, v1 dst_sel:DWORD dst_unused:UNUSED_PAD src0_sel:DWORD src1_sel:WORD_1
	v_mul_f16_sdwa v122, v64, v1 dst_sel:DWORD dst_unused:UNUSED_PAD src0_sel:DWORD src1_sel:WORD_1
	;; [unrolled: 1-line block ×6, first 2 shown]
	v_fma_f16 v119, v0, v56, -v119
	v_mul_f16_sdwa v127, v93, v4 dst_sel:DWORD dst_unused:UNUSED_PAD src0_sel:DWORD src1_sel:WORD_1
	v_mul_f16_sdwa v128, v94, v5 dst_sel:DWORD dst_unused:UNUSED_PAD src0_sel:DWORD src1_sel:WORD_1
	;; [unrolled: 1-line block ×14, first 2 shown]
	v_fma_f16 v64, v64, v1, -v121
	v_mul_f16_sdwa v121, v99, v10 dst_sel:DWORD dst_unused:UNUSED_PAD src0_sel:DWORD src1_sel:WORD_1
	v_fma_f16 v91, v91, v2, -v123
	v_mul_f16_sdwa v123, v100, v11 dst_sel:DWORD dst_unused:UNUSED_PAD src0_sel:DWORD src1_sel:WORD_1
	;; [unrolled: 2-line block ×3, first 2 shown]
	v_fmac_f16_e32 v120, v0, v31
	v_fmac_f16_e32 v122, v54, v1
	;; [unrolled: 1-line block ×4, first 2 shown]
	v_mul_f16_sdwa v0, v102, v17 dst_sel:DWORD dst_unused:UNUSED_PAD src0_sel:DWORD src1_sel:WORD_1
	v_mul_f16_sdwa v1, v69, v16 dst_sel:DWORD dst_unused:UNUSED_PAD src0_sel:DWORD src1_sel:WORD_1
	;; [unrolled: 1-line block ×4, first 2 shown]
	v_fmac_f16_e32 v127, v32, v4
	v_mul_f16_sdwa v62, v104, v19 dst_sel:DWORD dst_unused:UNUSED_PAD src0_sel:DWORD src1_sel:WORD_1
	v_mul_f16_sdwa v31, v73, v18 dst_sel:DWORD dst_unused:UNUSED_PAD src0_sel:DWORD src1_sel:WORD_1
	v_fmac_f16_e32 v128, v55, v5
	v_mul_f16_sdwa v32, v75, v19 dst_sel:DWORD dst_unused:UNUSED_PAD src0_sel:DWORD src1_sel:WORD_1
	v_mul_f16_sdwa v54, v76, v20 dst_sel:DWORD dst_unused:UNUSED_PAD src0_sel:DWORD src1_sel:WORD_1
	v_fmac_f16_e32 v130, v63, v6
	v_mul_f16_sdwa v55, v78, v21 dst_sel:DWORD dst_unused:UNUSED_PAD src0_sel:DWORD src1_sel:WORD_1
	v_fmac_f16_e32 v132, v67, v7
	v_mul_f16_sdwa v67, v80, v22 dst_sel:DWORD dst_unused:UNUSED_PAD src0_sel:DWORD src1_sel:WORD_1
	v_fma_f16 v4, v93, v4, -v129
	v_fma_f16 v5, v94, v5, -v131
	v_mul_f16_sdwa v94, v82, v23 dst_sel:DWORD dst_unused:UNUSED_PAD src0_sel:DWORD src1_sel:WORD_1
	v_fma_f16 v6, v95, v6, -v133
	v_mul_f16_sdwa v95, v108, v23 dst_sel:DWORD dst_unused:UNUSED_PAD src0_sel:DWORD src1_sel:WORD_1
	;; [unrolled: 2-line block ×3, first 2 shown]
	v_mul_f16_sdwa v129, v77, v12 dst_sel:DWORD dst_unused:UNUSED_PAD src0_sel:DWORD src1_sel:WORD_1
	v_mul_f16_sdwa v131, v110, v13 dst_sel:DWORD dst_unused:UNUSED_PAD src0_sel:DWORD src1_sel:WORD_1
	;; [unrolled: 1-line block ×4, first 2 shown]
	v_fma_f16 v97, v97, v8, -v135
	v_mul_f16_sdwa v135, v81, v14 dst_sel:DWORD dst_unused:UNUSED_PAD src0_sel:DWORD src1_sel:WORD_1
	v_fma_f16 v98, v98, v9, -v137
	v_mul_f16_sdwa v137, v112, v15 dst_sel:DWORD dst_unused:UNUSED_PAD src0_sel:DWORD src1_sel:WORD_1
	;; [unrolled: 2-line block ×3, first 2 shown]
	v_mul_f16_sdwa v63, v105, v20 dst_sel:DWORD dst_unused:UNUSED_PAD src0_sel:DWORD src1_sel:WORD_1
	v_mul_f16_sdwa v66, v106, v21 dst_sel:DWORD dst_unused:UNUSED_PAD src0_sel:DWORD src1_sel:WORD_1
	;; [unrolled: 1-line block ×3, first 2 shown]
	v_fma_f16 v100, v100, v11, -v56
	v_fmac_f16_e32 v136, v68, v8
	v_fmac_f16_e32 v138, v70, v9
	v_fmac_f16_e32 v121, v72, v10
	v_fmac_f16_e32 v123, v74, v11
	v_fmac_f16_e32 v124, v69, v16
	v_fmac_f16_e32 v0, v71, v17
	v_fmac_f16_e32 v2, v73, v18
	v_fmac_f16_e32 v62, v75, v19
	v_fma_f16 v1, v101, v16, -v1
	v_fma_f16 v3, v102, v17, -v3
	;; [unrolled: 1-line block ×8, first 2 shown]
	v_fmac_f16_e32 v95, v82, v23
	v_fmac_f16_e32 v96, v77, v12
	;; [unrolled: 1-line block ×5, first 2 shown]
	v_fma_f16 v12, v109, v12, -v129
	v_fma_f16 v13, v110, v13, -v133
	;; [unrolled: 1-line block ×4, first 2 shown]
	v_add_f16_e32 v23, v5, v6
	v_add_f16_e32 v31, v4, v7
	v_sub_f16_e32 v54, v5, v4
	v_sub_f16_e32 v55, v6, v7
	;; [unrolled: 1-line block ×4, first 2 shown]
	v_fmac_f16_e32 v63, v76, v20
	v_fmac_f16_e32 v66, v78, v21
	;; [unrolled: 1-line block ×3, first 2 shown]
	v_add_f16_e32 v18, v128, v130
	v_add_f16_e32 v19, v127, v132
	v_sub_f16_e32 v21, v128, v127
	v_sub_f16_e32 v22, v130, v132
	v_add_f16_e32 v32, v113, v4
	v_sub_f16_e32 v68, v119, v64
	v_sub_f16_e32 v69, v92, v91
	;; [unrolled: 1-line block ×10, first 2 shown]
	v_add_f16_e32 v81, v0, v2
	v_add_f16_e32 v82, v124, v62
	;; [unrolled: 1-line block ×3, first 2 shown]
	v_sub_f16_e32 v94, v0, v124
	v_sub_f16_e32 v101, v2, v62
	v_add_f16_e32 v102, v3, v8
	v_add_f16_e32 v103, v1, v9
	v_sub_f16_e32 v105, v3, v1
	v_sub_f16_e32 v106, v8, v9
	v_add_f16_e32 v107, v131, v134
	v_add_f16_e32 v108, v96, v137
	;; [unrolled: 4-line block ×3, first 2 shown]
	v_sub_f16_e32 v135, v13, v12
	v_sub_f16_e32 v139, v14, v15
	v_fma_f16 v23, -0.5, v23, v113
	v_fmac_f16_e32 v113, -0.5, v31
	v_sub_f16_e32 v31, v138, v136
	v_add_f16_e32 v140, v54, v55
	v_sub_f16_e32 v54, v121, v123
	v_add_f16_e32 v67, v56, v67
	v_sub_f16_e32 v55, v97, v98
	v_sub_f16_e32 v56, v100, v99
	v_add_f16_e32 v20, v85, v127
	v_add_f16_e32 v71, v64, v91
	;; [unrolled: 1-line block ×6, first 2 shown]
	v_fma_f16 v18, -0.5, v18, v85
	v_fmac_f16_e32 v85, -0.5, v19
	v_sub_f16_e32 v19, v136, v138
	v_add_f16_e32 v21, v21, v22
	v_sub_f16_e32 v22, v123, v121
	v_add_f16_e32 v68, v68, v69
	v_add_f16_e32 v69, v72, v73
	;; [unrolled: 1-line block ×6, first 2 shown]
	v_sub_f16_e32 v77, v98, v97
	v_add_f16_e32 v78, v79, v80
	v_sub_f16_e32 v79, v99, v100
	v_fma_f16 v80, -0.5, v81, v87
	v_fmac_f16_e32 v87, -0.5, v82
	v_sub_f16_e32 v81, v124, v0
	v_add_f16_e32 v82, v94, v101
	v_sub_f16_e32 v94, v62, v2
	v_fma_f16 v101, -0.5, v102, v115
	v_fmac_f16_e32 v115, -0.5, v103
	;; [unrolled: 5-line block ×4, first 2 shown]
	v_sub_f16_e32 v112, v66, v63
	v_add_f16_e32 v129, v135, v139
	v_sub_f16_e32 v135, v93, v95
	v_add_f16_e32 v139, v31, v54
	v_add_f16_e32 v141, v55, v56
	v_add_f16_e32 v54, v11, v16
	v_add_f16_e32 v55, v10, v17
	v_add_f16_e32 v83, v83, v0
	v_add_f16_e32 v70, v114, v119
	v_fma_f16 v71, -0.5, v71, v114
	v_fmac_f16_e32 v114, -0.5, v75
	v_add_f16_e32 v75, v117, v97
	v_add_f16_e32 v19, v19, v22
	v_sub_f16_e32 v22, v10, v11
	v_sub_f16_e32 v31, v17, v16
	v_fma_f16 v72, -0.5, v72, v117
	v_fmac_f16_e32 v117, -0.5, v73
	v_add_f16_e32 v73, v77, v79
	v_add_f16_e32 v77, v118, v10
	;; [unrolled: 1-line block ×6, first 2 shown]
	v_sub_f16_e32 v112, v12, v13
	v_fma_f16 v135, -0.5, v54, v118
	v_fmac_f16_e32 v118, -0.5, v55
	v_add_f16_e32 v54, v84, v120
	v_sub_f16_e32 v55, v15, v14
	v_sub_f16_e32 v0, v0, v2
	v_add_f16_e32 v2, v83, v2
	v_add_f16_e32 v83, v88, v63
	v_sub_f16_e32 v105, v96, v131
	v_sub_f16_e32 v110, v137, v134
	v_add_f16_e32 v22, v22, v31
	v_lshrrev_b16 v31, 11, v90
	v_add_f16_e32 v54, v54, v122
	v_add_f16_e32 v90, v112, v55
	;; [unrolled: 1-line block ×7, first 2 shown]
	v_sub_f16_e32 v112, v122, v125
	v_add_f16_e32 v70, v54, v125
	v_sub_f16_e32 v64, v64, v91
	v_add_f16_e32 v91, v55, v91
	v_mul_lo_u16 v55, v31, 15
	v_add_f16_e32 v125, v86, v136
	v_sub_f16_e32 v3, v3, v8
	v_add_f16_e32 v8, v104, v8
	v_add_f16_e32 v104, v66, v93
	v_sub_f16_e32 v66, v66, v93
	v_add_f16_e32 v77, v77, v11
	v_add_f16_e32 v83, v83, v93
	;; [unrolled: 1-line block ×3, first 2 shown]
	v_sub_f16_e32 v56, v11, v10
	v_sub_f16_e32 v94, v16, v17
	v_add_f16_e32 v20, v20, v128
	v_sub_f16_e32 v122, v128, v130
	v_add_f16_e32 v128, v32, v5
	v_sub_nc_u16 v32, v24, v55
	v_add_f16_e32 v55, v125, v138
	v_add_f16_e32 v125, v138, v121
	v_sub_f16_e32 v11, v11, v16
	v_sub_f16_e32 v119, v119, v92
	v_add_f16_e32 v16, v77, v16
	v_add_f16_e32 v77, v136, v123
	v_fma_f16 v93, -0.5, v93, v84
	v_fma_f16 v84, -0.5, v110, v84
	v_sub_f16_e32 v5, v5, v6
	v_add_f16_e32 v6, v128, v6
	v_add_f16_e32 v109, v109, v131
	v_sub_f16_e32 v120, v120, v126
	v_sub_f16_e32 v4, v4, v7
	v_sub_f16_e32 v97, v97, v100
	v_fma_f16 v110, -0.5, v125, v86
	v_fma_f16 v77, -0.5, v77, v86
	;; [unrolled: 1-line block ×3, first 2 shown]
	v_fmamk_f16 v104, v64, 0x3b9c, v93
	v_fmac_f16_e32 v93, 0xbb9c, v64
	v_fmamk_f16 v125, v119, 0xbb9c, v84
	v_fmac_f16_e32 v84, 0x3b9c, v119
	v_add_f16_e32 v91, v91, v92
	v_fmamk_f16 v92, v112, 0xbb9c, v114
	v_fmac_f16_e32 v114, 0x3b9c, v112
	v_add_f16_e32 v20, v20, v130
	v_sub_f16_e32 v128, v138, v121
	v_add_f16_e32 v75, v75, v98
	v_add_f16_e32 v121, v55, v121
	v_sub_f16_e32 v98, v98, v99
	v_sub_f16_e32 v130, v131, v134
	v_add_f16_e32 v131, v133, v13
	v_sub_f16_e32 v127, v127, v132
	v_sub_f16_e32 v133, v136, v123
	;; [unrolled: 1-line block ×4, first 2 shown]
	v_add_f16_e32 v109, v109, v134
	v_add_f16_e32 v134, v63, v95
	;; [unrolled: 1-line block ×3, first 2 shown]
	v_fmac_f16_e32 v104, 0xb8b4, v119
	v_fmac_f16_e32 v93, 0x38b4, v119
	v_fmamk_f16 v119, v120, 0x3b9c, v71
	v_fmac_f16_e32 v71, 0xbb9c, v120
	v_fmac_f16_e32 v92, 0x38b4, v120
	v_fmac_f16_e32 v114, 0xb8b4, v120
	v_fmamk_f16 v120, v4, 0xbb9c, v18
	v_fmac_f16_e32 v18, 0x3b9c, v4
	;; [unrolled: 4-line block ×3, first 2 shown]
	v_fmamk_f16 v126, v122, 0xbb9c, v113
	v_fmac_f16_e32 v113, 0x3b9c, v122
	v_add_f16_e32 v6, v6, v7
	v_fmamk_f16 v7, v97, 0xbb9c, v110
	v_fmac_f16_e32 v110, 0x3b9c, v97
	v_add_f16_e32 v75, v75, v99
	v_sub_f16_e32 v13, v13, v14
	v_sub_f16_e32 v63, v63, v95
	;; [unrolled: 1-line block ×5, first 2 shown]
	v_fma_f16 v88, -0.5, v134, v88
	v_fmac_f16_e32 v119, 0x38b4, v112
	v_fmac_f16_e32 v71, 0xb8b4, v112
	v_fmamk_f16 v112, v127, 0x3b9c, v23
	v_fmac_f16_e32 v23, 0xbb9c, v127
	v_fmac_f16_e32 v120, 0xb8b4, v5
	v_fmac_f16_e32 v18, 0x38b4, v5
	v_fmamk_f16 v5, v98, 0x3b9c, v77
	v_fmac_f16_e32 v77, 0xbb9c, v98
	;; [unrolled: 4-line block ×4, first 2 shown]
	v_add_f16_e32 v121, v121, v123
	v_fmamk_f16 v123, v3, 0x3b9c, v87
	v_fmac_f16_e32 v87, 0xbb9c, v3
	v_fmac_f16_e32 v7, 0xb8b4, v98
	;; [unrolled: 1-line block ×3, first 2 shown]
	v_fmamk_f16 v98, v124, 0x3b9c, v101
	v_fmac_f16_e32 v101, 0xbb9c, v124
	v_add_f16_e32 v14, v131, v14
	v_fmac_f16_e32 v112, 0x38b4, v122
	v_fmac_f16_e32 v23, 0xb8b4, v122
	v_fmamk_f16 v122, v128, 0xbb9c, v117
	v_fmac_f16_e32 v117, 0x3b9c, v128
	v_fmac_f16_e32 v5, 0xb8b4, v97
	;; [unrolled: 1-line block ×3, first 2 shown]
	v_fmamk_f16 v97, v0, 0xbb9c, v115
	v_fmac_f16_e32 v115, 0x3b9c, v0
	v_add_f16_e32 v75, v75, v100
	v_fmamk_f16 v100, v10, 0xbb9c, v86
	v_fmac_f16_e32 v86, 0x3b9c, v10
	v_fmac_f16_e32 v4, 0x38b4, v128
	;; [unrolled: 1-line block ×3, first 2 shown]
	v_fmamk_f16 v128, v11, 0x3b9c, v88
	v_fmac_f16_e32 v88, 0xbb9c, v11
	v_fmamk_f16 v131, v63, 0x3b9c, v135
	v_fmac_f16_e32 v135, 0xbb9c, v63
	v_add_f16_e32 v2, v2, v62
	v_fmamk_f16 v62, v66, 0xbb9c, v118
	v_fmac_f16_e32 v118, 0x3b9c, v66
	v_fmac_f16_e32 v127, 0xb8b4, v3
	;; [unrolled: 1-line block ×3, first 2 shown]
	v_fmamk_f16 v3, v12, 0xbb9c, v106
	v_fmac_f16_e32 v106, 0x3b9c, v12
	v_fmac_f16_e32 v87, 0x38b4, v1
	;; [unrolled: 1-line block ×3, first 2 shown]
	v_fmamk_f16 v1, v13, 0x3b9c, v89
	v_fmac_f16_e32 v89, 0xbb9c, v13
	v_add_f16_e32 v8, v8, v9
	v_fmamk_f16 v9, v96, 0x3b9c, v111
	v_fmac_f16_e32 v111, 0xbb9c, v96
	v_fmac_f16_e32 v98, 0x38b4, v0
	;; [unrolled: 1-line block ×3, first 2 shown]
	v_fmamk_f16 v0, v130, 0xbb9c, v116
	v_fmac_f16_e32 v116, 0x3b9c, v130
	v_add_f16_e32 v94, v56, v94
	v_mul_u32_u24_sdwa v56, v48, v65 dst_sel:DWORD dst_unused:UNUSED_PAD src0_sel:WORD_0 src1_sel:DWORD
	v_fmac_f16_e32 v122, 0x38b4, v133
	v_fmac_f16_e32 v117, 0xb8b4, v133
	v_fmac_f16_e32 v115, 0xb8b4, v124
	v_fmac_f16_e32 v97, 0x38b4, v124
	v_add_f16_e32 v83, v83, v95
	v_fmac_f16_e32 v100, 0xb8b4, v11
	v_fmac_f16_e32 v86, 0x38b4, v11
	v_fmac_f16_e32 v128, 0xb8b4, v10
	v_fmac_f16_e32 v88, 0x38b4, v10
	v_add_f16_e32 v10, v16, v17
	;; [unrolled: 5-line block ×4, first 2 shown]
	v_fmac_f16_e32 v9, 0x38b4, v130
	v_fmac_f16_e32 v111, 0xb8b4, v130
	;; [unrolled: 1-line block ×12, first 2 shown]
	v_add_f16_e32 v20, v20, v132
	v_fmac_f16_e32 v120, 0x34f2, v76
	v_fmac_f16_e32 v112, 0x34f2, v78
	;; [unrolled: 1-line block ×8, first 2 shown]
	v_lshrrev_b32_e32 v56, 19, v56
	v_pack_b32_f16 v13, v70, v91
	v_fmac_f16_e32 v18, 0x34f2, v76
	v_fmac_f16_e32 v23, 0x34f2, v78
	;; [unrolled: 1-line block ×32, first 2 shown]
	v_pack_b32_f16 v2, v2, v8
	v_pack_b32_f16 v8, v83, v10
	;; [unrolled: 1-line block ×29, first 2 shown]
	ds_write2_b32 v59, v13, v12 offset1:3
	ds_write2_b32 v59, v15, v16 offset0:6 offset1:9
	ds_write_b32 v59, v17 offset:48
	ds_write2_b32 v61, v6, v19 offset1:3
	ds_write2_b32 v61, v22, v11 offset0:6 offset1:9
	ds_write_b32 v61, v18 offset:48
	;; [unrolled: 3-line block ×6, first 2 shown]
	v_mul_lo_u16 v4, v56, 15
	v_mul_lo_u16 v54, 0x89, v53
	v_mul_u32_u24_sdwa v13, v51, v65 dst_sel:DWORD dst_unused:UNUSED_PAD src0_sel:WORD_0 src1_sel:DWORD
	v_mul_u32_u24_sdwa v14, v50, v65 dst_sel:DWORD dst_unused:UNUSED_PAD src0_sel:WORD_0 src1_sel:DWORD
	v_lshlrev_b32_sdwa v99, v29, v32 dst_sel:DWORD dst_unused:UNUSED_PAD src0_sel:DWORD src1_sel:BYTE_0
	v_sub_nc_u16 v57, v48, v4
	v_mul_u32_u24_sdwa v4, v49, v65 dst_sel:DWORD dst_unused:UNUSED_PAD src0_sel:WORD_0 src1_sel:DWORD
	v_lshrrev_b16 v54, 11, v54
	v_lshrrev_b32_e32 v60, 19, v13
	v_lshrrev_b32_e32 v62, 19, v14
	s_waitcnt lgkmcnt(0)
	v_lshrrev_b32_e32 v58, 19, v4
	v_mul_lo_u16 v55, v54, 15
	v_mul_lo_u16 v13, v60, 15
	s_barrier
	buffer_gl0_inv
	v_mul_lo_u16 v12, v58, 15
	v_sub_nc_u16 v55, v47, v55
	v_sub_nc_u16 v61, v51, v13
	v_mul_lo_u16 v13, v62, 15
	global_load_dwordx4 v[0:3], v99, s[8:9] offset:48
	v_sub_nc_u16 v59, v49, v12
	v_lshlrev_b32_sdwa v5, v29, v55 dst_sel:DWORD dst_unused:UNUSED_PAD src0_sel:DWORD src1_sel:BYTE_0
	v_mov_b32_e32 v66, 0x12c
	v_sub_nc_u16 v63, v50, v13
	v_mul_u32_u24_e32 v67, 0x12c, v58
	v_lshlrev_b32_sdwa v12, v29, v59 dst_sel:DWORD dst_unused:UNUSED_PAD src0_sel:DWORD src1_sel:WORD_0
	global_load_dwordx4 v[8:11], v5, s[8:9] offset:48
	v_mul_u32_u24_sdwa v72, v54, v66 dst_sel:DWORD dst_unused:UNUSED_PAD src0_sel:WORD_0 src1_sel:DWORD
	v_lshlrev_b32_sdwa v54, v52, v57 dst_sel:DWORD dst_unused:UNUSED_PAD src0_sel:DWORD src1_sel:WORD_0
	v_mul_u32_u24_sdwa v31, v31, v66 dst_sel:DWORD dst_unused:UNUSED_PAD src0_sel:WORD_0 src1_sel:DWORD
	global_load_dwordx4 v[16:19], v12, s[8:9] offset:48
	v_lshlrev_b32_sdwa v5, v29, v57 dst_sel:DWORD dst_unused:UNUSED_PAD src0_sel:DWORD src1_sel:WORD_0
	v_lshlrev_b32_sdwa v12, v29, v61 dst_sel:DWORD dst_unused:UNUSED_PAD src0_sel:DWORD src1_sel:WORD_0
	v_lshlrev_b32_sdwa v57, v52, v59 dst_sel:DWORD dst_unused:UNUSED_PAD src0_sel:DWORD src1_sel:WORD_0
	v_lshlrev_b32_sdwa v32, v52, v32 dst_sel:DWORD dst_unused:UNUSED_PAD src0_sel:DWORD src1_sel:BYTE_0
	v_mul_u32_u24_e32 v70, 0x12c, v60
	s_clause 0x1
	global_load_dwordx4 v[4:7], v5, s[8:9] offset:48
	global_load_dwordx4 v[20:23], v12, s[8:9] offset:48
	v_lshlrev_b32_sdwa v12, v29, v63 dst_sel:DWORD dst_unused:UNUSED_PAD src0_sel:DWORD src1_sel:WORD_0
	v_mul_u32_u24_e32 v71, 0x12c, v62
	v_lshlrev_b32_sdwa v73, v52, v61 dst_sel:DWORD dst_unused:UNUSED_PAD src0_sel:DWORD src1_sel:WORD_0
	v_add3_u32 v57, 0, v67, v57
	v_mul_u32_u24_e32 v56, 0x12c, v56
	global_load_dwordx4 v[12:15], v12, s[8:9] offset:48
	ds_read2_b32 v[59:60], v40 offset0:56 offset1:181
	ds_read2_b32 v[61:62], v46 offset0:110 offset1:235
	;; [unrolled: 1-line block ×4, first 2 shown]
	v_lshlrev_b32_sdwa v63, v52, v63 dst_sel:DWORD dst_unused:UNUSED_PAD src0_sel:DWORD src1_sel:WORD_0
	v_add3_u32 v58, 0, v31, v32
	v_lshlrev_b32_sdwa v31, v52, v55 dst_sel:DWORD dst_unused:UNUSED_PAD src0_sel:DWORD src1_sel:BYTE_0
	v_add3_u32 v55, 0, v56, v54
	v_add3_u32 v54, 0, v70, v73
	;; [unrolled: 1-line block ×3, first 2 shown]
	v_mov_b32_e32 v65, 0xb4e9
	v_add3_u32 v63, 0, v72, v31
	ds_read2_b32 v[70:71], v43 offset0:104 offset1:229
	ds_read2_b32 v[72:73], v38 offset0:86 offset1:211
	;; [unrolled: 1-line block ×8, first 2 shown]
	ds_read2_b32 v[86:87], v33 offset1:125
	ds_read2_b32 v[88:89], v35 offset0:122 offset1:247
	ds_read2_b32 v[31:32], v37 offset0:116 offset1:241
	s_waitcnt vmcnt(0) lgkmcnt(0)
	s_barrier
	v_mul_u32_u24_sdwa v65, v48, v65 dst_sel:DWORD dst_unused:UNUSED_PAD src0_sel:WORD_0 src1_sel:DWORD
	buffer_gl0_inv
	v_add_nc_u32_e32 v29, 0xffffffb5, v24
	v_mov_b32_e32 v30, 0
	v_lshrrev_b32_e32 v90, 16, v59
	v_lshrrev_b32_e32 v91, 16, v61
	;; [unrolled: 1-line block ×30, first 2 shown]
	v_cndmask_b32_e64 v64, v29, v24, s0
	v_mul_i32_i24_e32 v29, 9, v64
	v_mul_f16_sdwa v120, v0, v61 dst_sel:DWORD dst_unused:UNUSED_PAD src0_sel:WORD_1 src1_sel:DWORD
	v_mul_f16_sdwa v122, v1, v66 dst_sel:DWORD dst_unused:UNUSED_PAD src0_sel:WORD_1 src1_sel:DWORD
	;; [unrolled: 1-line block ×3, first 2 shown]
	v_mul_f16_sdwa v125, v59, v3 dst_sel:DWORD dst_unused:UNUSED_PAD src0_sel:DWORD src1_sel:WORD_1
	v_mul_f16_sdwa v121, v0, v91 dst_sel:DWORD dst_unused:UNUSED_PAD src0_sel:WORD_1 src1_sel:DWORD
	v_mul_f16_sdwa v123, v1, v93 dst_sel:DWORD dst_unused:UNUSED_PAD src0_sel:WORD_1 src1_sel:DWORD
	;; [unrolled: 1-line block ×3, first 2 shown]
	v_mul_f16_sdwa v127, v90, v3 dst_sel:DWORD dst_unused:UNUSED_PAD src0_sel:DWORD src1_sel:WORD_1
	v_mul_f16_sdwa v128, v92, v8 dst_sel:DWORD dst_unused:UNUSED_PAD src0_sel:DWORD src1_sel:WORD_1
	;; [unrolled: 1-line block ×9, first 2 shown]
	v_fma_f16 v91, v0, v91, -v120
	v_mul_f16_sdwa v136, v70, v4 dst_sel:DWORD dst_unused:UNUSED_PAD src0_sel:DWORD src1_sel:WORD_1
	v_mul_f16_sdwa v137, v98, v4 dst_sel:DWORD dst_unused:UNUSED_PAD src0_sel:DWORD src1_sel:WORD_1
	;; [unrolled: 1-line block ×5, first 2 shown]
	v_fma_f16 v93, v1, v93, -v122
	v_mul_f16_sdwa v122, v76, v7 dst_sel:DWORD dst_unused:UNUSED_PAD src0_sel:DWORD src1_sel:WORD_1
	v_fma_f16 v94, v2, v94, -v124
	v_mul_f16_sdwa v124, v100, v6 dst_sel:DWORD dst_unused:UNUSED_PAD src0_sel:DWORD src1_sel:WORD_1
	;; [unrolled: 2-line block ×3, first 2 shown]
	v_fmac_f16_e32 v121, v0, v61
	v_fmac_f16_e32 v123, v1, v66
	v_fmac_f16_e32 v126, v2, v68
	v_fmac_f16_e32 v127, v59, v3
	v_mul_f16_sdwa v0, v102, v16 dst_sel:DWORD dst_unused:UNUSED_PAD src0_sel:DWORD src1_sel:WORD_1
	v_mul_f16_sdwa v1, v103, v17 dst_sel:DWORD dst_unused:UNUSED_PAD src0_sel:DWORD src1_sel:WORD_1
	v_mul_f16_sdwa v2, v71, v16 dst_sel:DWORD dst_unused:UNUSED_PAD src0_sel:DWORD src1_sel:WORD_1
	v_mul_f16_sdwa v3, v104, v18 dst_sel:DWORD dst_unused:UNUSED_PAD src0_sel:DWORD src1_sel:WORD_1
	v_fmac_f16_e32 v128, v62, v8
	v_mul_f16_sdwa v59, v73, v17 dst_sel:DWORD dst_unused:UNUSED_PAD src0_sel:DWORD src1_sel:WORD_1
	v_mul_f16_sdwa v61, v105, v19 dst_sel:DWORD dst_unused:UNUSED_PAD src0_sel:DWORD src1_sel:WORD_1
	v_fmac_f16_e32 v129, v67, v9
	v_mul_f16_sdwa v62, v75, v18 dst_sel:DWORD dst_unused:UNUSED_PAD src0_sel:DWORD src1_sel:WORD_1
	v_mul_f16_sdwa v66, v77, v19 dst_sel:DWORD dst_unused:UNUSED_PAD src0_sel:DWORD src1_sel:WORD_1
	;; [unrolled: 3-line block ×3, first 2 shown]
	v_fmac_f16_e32 v133, v60, v11
	v_mul_f16_sdwa v60, v80, v21 dst_sel:DWORD dst_unused:UNUSED_PAD src0_sel:DWORD src1_sel:WORD_1
	v_fma_f16 v8, v92, v8, -v130
	v_mul_f16_sdwa v92, v82, v22 dst_sel:DWORD dst_unused:UNUSED_PAD src0_sel:DWORD src1_sel:WORD_1
	v_fma_f16 v9, v95, v9, -v132
	;; [unrolled: 2-line block ×4, first 2 shown]
	v_mul_f16_sdwa v97, v109, v23 dst_sel:DWORD dst_unused:UNUSED_PAD src0_sel:DWORD src1_sel:WORD_1
	v_mul_f16_sdwa v130, v110, v12 dst_sel:DWORD dst_unused:UNUSED_PAD src0_sel:DWORD src1_sel:WORD_1
	;; [unrolled: 1-line block ×5, first 2 shown]
	v_fma_f16 v98, v98, v4, -v136
	v_mul_f16_sdwa v136, v112, v14 dst_sel:DWORD dst_unused:UNUSED_PAD src0_sel:DWORD src1_sel:WORD_1
	v_fma_f16 v99, v99, v5, -v138
	v_mul_f16_sdwa v138, v83, v14 dst_sel:DWORD dst_unused:UNUSED_PAD src0_sel:DWORD src1_sel:WORD_1
	;; [unrolled: 2-line block ×4, first 2 shown]
	v_fmac_f16_e32 v137, v70, v4
	v_fmac_f16_e32 v139, v72, v5
	;; [unrolled: 1-line block ×4, first 2 shown]
	v_mul_f16_sdwa v69, v107, v21 dst_sel:DWORD dst_unused:UNUSED_PAD src0_sel:DWORD src1_sel:WORD_1
	v_fmac_f16_e32 v0, v71, v16
	v_fmac_f16_e32 v1, v73, v17
	;; [unrolled: 1-line block ×4, first 2 shown]
	v_fma_f16 v2, v102, v16, -v2
	v_fma_f16 v4, v103, v17, -v59
	;; [unrolled: 1-line block ×8, first 2 shown]
	v_fmac_f16_e32 v68, v78, v20
	v_fmac_f16_e32 v95, v82, v22
	v_fmac_f16_e32 v97, v84, v23
	v_fmac_f16_e32 v130, v79, v12
	v_fmac_f16_e32 v134, v81, v13
	v_fmac_f16_e32 v136, v83, v14
	v_fmac_f16_e32 v120, v85, v15
	v_fma_f16 v12, v110, v12, -v132
	v_fma_f16 v13, v111, v13, -v135
	;; [unrolled: 1-line block ×4, first 2 shown]
	v_add_f16_e32 v19, v129, v131
	v_add_f16_e32 v20, v128, v133
	v_sub_f16_e32 v22, v129, v128
	v_sub_f16_e32 v23, v131, v133
	v_add_f16_e32 v59, v9, v10
	v_add_f16_e32 v60, v8, v11
	v_sub_f16_e32 v66, v9, v8
	v_sub_f16_e32 v67, v10, v11
	;; [unrolled: 1-line block ×8, first 2 shown]
	v_add_f16_e32 v132, v99, v100
	v_add_f16_e32 v135, v98, v101
	v_fmac_f16_e32 v69, v80, v21
	v_add_f16_e32 v21, v87, v128
	v_add_f16_e32 v62, v114, v8
	v_sub_f16_e32 v70, v121, v123
	v_sub_f16_e32 v71, v127, v126
	;; [unrolled: 1-line block ×4, first 2 shown]
	v_add_f16_e32 v75, v93, v94
	v_sub_f16_e32 v76, v123, v121
	v_sub_f16_e32 v77, v126, v127
	;; [unrolled: 1-line block ×3, first 2 shown]
	v_add_f16_e32 v79, v91, v90
	v_sub_f16_e32 v80, v94, v90
	v_sub_f16_e32 v81, v128, v129
	;; [unrolled: 1-line block ×5, first 2 shown]
	v_add_f16_e32 v85, v1, v3
	v_add_f16_e32 v92, v0, v61
	v_sub_f16_e32 v102, v1, v0
	v_sub_f16_e32 v103, v3, v61
	v_add_f16_e32 v104, v4, v5
	v_add_f16_e32 v105, v2, v6
	;; [unrolled: 1-line block ×3, first 2 shown]
	v_fma_f16 v19, -0.5, v19, v87
	v_fmac_f16_e32 v87, -0.5, v20
	v_sub_f16_e32 v20, v99, v98
	v_add_f16_e32 v22, v22, v23
	v_sub_f16_e32 v23, v100, v101
	v_fma_f16 v59, -0.5, v59, v114
	v_fmac_f16_e32 v114, -0.5, v60
	v_sub_f16_e32 v60, v0, v1
	v_add_f16_e32 v66, v66, v67
	v_sub_f16_e32 v67, v61, v3
	v_add_f16_e32 v109, v109, v110
	;; [unrolled: 2-line block ×4, first 2 shown]
	v_sub_f16_e32 v122, v130, v134
	v_fma_f16 v132, -0.5, v132, v117
	v_fmac_f16_e32 v117, -0.5, v135
	v_sub_f16_e32 v135, v120, v136
	v_add_f16_e32 v74, v115, v91
	v_add_f16_e32 v96, v89, v0
	;; [unrolled: 1-line block ×3, first 2 shown]
	v_sub_f16_e32 v107, v4, v2
	v_sub_f16_e32 v108, v5, v6
	v_add_f16_e32 v70, v70, v71
	v_sub_f16_e32 v71, v2, v4
	v_add_f16_e32 v72, v72, v73
	;; [unrolled: 2-line block ×3, first 2 shown]
	v_sub_f16_e32 v77, v68, v69
	v_fma_f16 v75, -0.5, v75, v115
	v_fmac_f16_e32 v115, -0.5, v79
	v_sub_f16_e32 v79, v97, v95
	v_add_f16_e32 v78, v78, v80
	v_sub_f16_e32 v80, v69, v68
	v_add_f16_e32 v81, v81, v82
	;; [unrolled: 2-line block ×3, first 2 shown]
	v_sub_f16_e32 v84, v7, v16
	v_fma_f16 v85, -0.5, v85, v89
	v_fmac_f16_e32 v89, -0.5, v92
	v_sub_f16_e32 v92, v18, v17
	v_add_f16_e32 v102, v102, v103
	v_add_f16_e32 v103, v16, v17
	v_fma_f16 v104, -0.5, v104, v116
	v_fmac_f16_e32 v116, -0.5, v105
	v_add_f16_e32 v105, v7, v18
	v_add_f16_e32 v20, v20, v23
	;; [unrolled: 1-line block ×14, first 2 shown]
	v_sub_f16_e32 v79, v134, v130
	v_add_f16_e32 v80, v80, v82
	v_sub_f16_e32 v82, v136, v120
	v_add_f16_e32 v84, v84, v92
	v_sub_f16_e32 v92, v12, v13
	v_fma_f16 v103, -0.5, v103, v118
	v_fmac_f16_e32 v118, -0.5, v105
	v_sub_f16_e32 v105, v15, v14
	v_fma_f16 v23, -0.5, v23, v32
	v_fmac_f16_e32 v32, -0.5, v67
	v_add_f16_e32 v67, v119, v12
	v_fma_f16 v112, -0.5, v112, v119
	v_fmac_f16_e32 v119, -0.5, v135
	v_add_f16_e32 v135, v86, v121
	v_add_f16_e32 v79, v79, v82
	v_sub_f16_e32 v82, v13, v12
	v_add_f16_e32 v92, v92, v105
	v_sub_f16_e32 v105, v14, v15
	v_add_f16_e32 v135, v135, v123
	v_add_f16_e32 v74, v74, v93
	v_sub_f16_e32 v93, v93, v94
	v_add_f16_e32 v21, v21, v129
	v_add_f16_e32 v82, v82, v105
	;; [unrolled: 1-line block ×3, first 2 shown]
	v_sub_f16_e32 v123, v123, v126
	v_add_f16_e32 v126, v135, v126
	v_add_f16_e32 v135, v88, v137
	;; [unrolled: 1-line block ×7, first 2 shown]
	v_sub_f16_e32 v139, v139, v124
	v_add_f16_e32 v96, v96, v1
	v_add_f16_e32 v67, v67, v13
	v_sub_f16_e32 v129, v129, v131
	v_add_f16_e32 v124, v135, v124
	v_add_f16_e32 v135, v121, v127
	v_sub_f16_e32 v9, v9, v10
	v_sub_f16_e32 v99, v99, v100
	;; [unrolled: 1-line block ×3, first 2 shown]
	v_add_f16_e32 v21, v21, v131
	v_fma_f16 v135, -0.5, v135, v86
	v_add_f16_e32 v131, v31, v68
	v_add_f16_e32 v106, v106, v4
	;; [unrolled: 1-line block ×5, first 2 shown]
	v_sub_f16_e32 v121, v121, v127
	v_sub_f16_e32 v91, v91, v90
	;; [unrolled: 1-line block ×4, first 2 shown]
	v_add_f16_e32 v100, v138, v100
	v_add_f16_e32 v138, v137, v125
	;; [unrolled: 1-line block ×4, first 2 shown]
	v_fma_f16 v86, -0.5, v105, v86
	v_sub_f16_e32 v13, v13, v14
	v_add_f16_e32 v14, v67, v14
	v_fmamk_f16 v67, v93, 0x3b9c, v135
	v_fmac_f16_e32 v135, 0xbb9c, v93
	v_sub_f16_e32 v4, v4, v5
	v_add_f16_e32 v131, v131, v69
	v_sub_f16_e32 v16, v16, v17
	v_add_f16_e32 v73, v73, v134
	v_sub_f16_e32 v137, v137, v125
	v_sub_f16_e32 v98, v98, v101
	;; [unrolled: 1-line block ×4, first 2 shown]
	v_fma_f16 v94, -0.5, v94, v88
	v_fma_f16 v88, -0.5, v138, v88
	;; [unrolled: 1-line block ×4, first 2 shown]
	v_add_f16_e32 v5, v106, v5
	v_add_f16_e32 v17, v108, v17
	v_fmamk_f16 v96, v91, 0xbb9c, v86
	v_fmac_f16_e32 v86, 0x3b9c, v91
	v_fmamk_f16 v105, v123, 0xbb9c, v115
	v_fmac_f16_e32 v115, 0x3b9c, v123
	;; [unrolled: 2-line block ×4, first 2 shown]
	v_add_f16_e32 v126, v126, v127
	v_fmamk_f16 v127, v9, 0x3b9c, v87
	v_fmac_f16_e32 v87, 0xbb9c, v9
	v_add_f16_e32 v74, v74, v90
	v_fmamk_f16 v90, v128, 0x3b9c, v59
	v_fmac_f16_e32 v59, 0xbb9c, v128
	v_fmac_f16_e32 v67, 0xb8b4, v91
	;; [unrolled: 1-line block ×3, first 2 shown]
	v_fmamk_f16 v91, v129, 0xbb9c, v114
	v_fmac_f16_e32 v114, 0x3b9c, v129
	v_sub_f16_e32 v69, v69, v95
	v_sub_f16_e32 v68, v68, v97
	;; [unrolled: 1-line block ×3, first 2 shown]
	v_add_f16_e32 v95, v131, v95
	v_add_f16_e32 v73, v73, v136
	v_fmac_f16_e32 v105, 0x38b4, v121
	v_fmac_f16_e32 v115, 0xb8b4, v121
	v_fmamk_f16 v121, v98, 0xbb9c, v94
	v_fmac_f16_e32 v94, 0x3b9c, v98
	v_fmac_f16_e32 v96, 0xb8b4, v93
	v_fmac_f16_e32 v86, 0x38b4, v93
	v_fmamk_f16 v93, v99, 0x3b9c, v88
	v_fmac_f16_e32 v88, 0xbb9c, v99
	v_fmac_f16_e32 v106, 0x38b4, v123
	v_fmac_f16_e32 v75, 0xb8b4, v123
	v_fmamk_f16 v123, v137, 0x3b9c, v132
	v_fmac_f16_e32 v132, 0xbb9c, v137
	v_fmamk_f16 v131, v139, 0xbb9c, v117
	v_fmac_f16_e32 v117, 0x3b9c, v139
	v_add_f16_e32 v10, v10, v11
	v_fmamk_f16 v11, v2, 0xbb9c, v85
	v_fmac_f16_e32 v85, 0x3b9c, v2
	v_fmac_f16_e32 v108, 0xb8b4, v9
	v_fmac_f16_e32 v19, 0x38b4, v9
	v_fmamk_f16 v9, v4, 0x3b9c, v89
	v_fmac_f16_e32 v89, 0xbb9c, v4
	v_fmac_f16_e32 v87, 0x38b4, v8
	v_fmac_f16_e32 v127, 0xb8b4, v8
	v_fmamk_f16 v8, v0, 0x3b9c, v104
	v_fmac_f16_e32 v104, 0xbb9c, v0
	v_fmac_f16_e32 v90, 0x38b4, v129
	v_fmac_f16_e32 v59, 0xb8b4, v129
	v_fmamk_f16 v129, v1, 0xbb9c, v116
	v_fmac_f16_e32 v116, 0x3b9c, v1
	v_sub_f16_e32 v12, v12, v15
	v_fmac_f16_e32 v114, 0xb8b4, v128
	v_fmac_f16_e32 v91, 0x38b4, v128
	v_fmamk_f16 v128, v7, 0xbb9c, v62
	v_fmac_f16_e32 v62, 0x3b9c, v7
	v_add_f16_e32 v124, v124, v125
	v_fmamk_f16 v125, v16, 0x3b9c, v31
	v_fmac_f16_e32 v31, 0xbb9c, v16
	v_fmac_f16_e32 v121, 0xb8b4, v99
	v_fmac_f16_e32 v94, 0x38b4, v99
	v_fmamk_f16 v99, v68, 0x3b9c, v103
	v_fmac_f16_e32 v103, 0xbb9c, v68
	v_fmac_f16_e32 v93, 0xb8b4, v98
	v_fmac_f16_e32 v88, 0x38b4, v98
	;; [unrolled: 4-line block ×3, first 2 shown]
	v_fmac_f16_e32 v131, 0x38b4, v137
	v_fmac_f16_e32 v117, 0xb8b4, v137
	v_add_f16_e32 v3, v3, v61
	v_fmac_f16_e32 v11, 0xb8b4, v4
	v_fmac_f16_e32 v85, 0x38b4, v4
	;; [unrolled: 1-line block ×4, first 2 shown]
	v_add_f16_e32 v2, v5, v6
	v_fmac_f16_e32 v8, 0x38b4, v1
	v_fmac_f16_e32 v104, 0xb8b4, v1
	;; [unrolled: 1-line block ×4, first 2 shown]
	v_add_f16_e32 v4, v73, v120
	v_add_f16_e32 v5, v14, v15
	v_fmac_f16_e32 v96, 0x34f2, v70
	v_fmac_f16_e32 v106, 0x34f2, v72
	v_add_f16_e32 v21, v21, v133
	v_fmamk_f16 v133, v13, 0x3b9c, v32
	v_fmac_f16_e32 v32, 0xbb9c, v13
	v_fmac_f16_e32 v67, 0x34f2, v76
	;; [unrolled: 1-line block ×5, first 2 shown]
	v_add_f16_e32 v100, v100, v101
	v_fmamk_f16 v101, v12, 0xbb9c, v23
	v_fmac_f16_e32 v23, 0x3b9c, v12
	v_fmac_f16_e32 v86, 0x34f2, v70
	;; [unrolled: 1-line block ×5, first 2 shown]
	v_add_f16_e32 v0, v95, v97
	v_add_f16_e32 v1, v17, v18
	v_fmac_f16_e32 v87, 0x34f2, v22
	v_fmac_f16_e32 v127, 0x34f2, v22
	;; [unrolled: 1-line block ×4, first 2 shown]
	v_sub_f16_e32 v130, v130, v120
	v_fmac_f16_e32 v128, 0xb8b4, v16
	v_fmac_f16_e32 v62, 0x38b4, v16
	;; [unrolled: 1-line block ×8, first 2 shown]
	v_pack_b32_f16 v6, v126, v74
	v_fmac_f16_e32 v19, 0x34f2, v81
	v_fmac_f16_e32 v59, 0x34f2, v83
	;; [unrolled: 1-line block ×18, first 2 shown]
	v_pack_b32_f16 v2, v3, v2
	v_pack_b32_f16 v3, v4, v5
	;; [unrolled: 1-line block ×3, first 2 shown]
	v_sub_f16_e32 v134, v134, v136
	v_fmac_f16_e32 v133, 0xb8b4, v12
	v_fmac_f16_e32 v32, 0x38b4, v12
	v_pack_b32_f16 v5, v67, v105
	v_pack_b32_f16 v12, v135, v115
	v_fmac_f16_e32 v101, 0xb8b4, v13
	v_fmac_f16_e32 v23, 0x38b4, v13
	v_pack_b32_f16 v13, v86, v75
	v_pack_b32_f16 v7, v21, v10
	;; [unrolled: 1-line block ×6, first 2 shown]
	v_fmamk_f16 v136, v130, 0x3b9c, v112
	v_fmac_f16_e32 v128, 0x34f2, v77
	v_fmac_f16_e32 v62, 0x34f2, v77
	;; [unrolled: 1-line block ×8, first 2 shown]
	v_pack_b32_f16 v10, v124, v100
	v_pack_b32_f16 v15, v89, v116
	;; [unrolled: 1-line block ×10, first 2 shown]
	ds_write2_b32 v58, v6, v4 offset1:15
	ds_write2_b32 v58, v5, v12 offset0:30 offset1:45
	ds_write_b32 v58, v13 offset:240
	ds_write2_b32 v63, v7, v14 offset1:15
	ds_write2_b32 v63, v16, v1 offset0:30 offset1:45
	ds_write_b32 v63, v17 offset:240
	;; [unrolled: 3-line block ×4, first 2 shown]
	v_lshrrev_b32_e32 v2, 16, v65
	v_fmamk_f16 v61, v134, 0xbb9c, v119
	v_fmac_f16_e32 v119, 0x3b9c, v134
	v_fmac_f16_e32 v136, 0x38b4, v134
	v_pack_b32_f16 v22, v128, v99
	v_pack_b32_f16 v59, v125, v98
	;; [unrolled: 1-line block ×4, first 2 shown]
	v_mul_lo_u16 v6, 0xdb, v53
	v_sub_nc_u16 v7, v48, v2
	v_fmac_f16_e32 v61, 0x38b4, v130
	v_fmac_f16_e32 v119, 0xb8b4, v130
	;; [unrolled: 1-line block ×4, first 2 shown]
	ds_write2_b32 v54, v0, v22 offset1:15
	ds_write2_b32 v54, v59, v31 offset0:30 offset1:45
	ds_write_b32 v54, v60 offset:240
	v_lshrrev_b16 v54, 14, v6
	v_lshrrev_b16 v6, 1, v7
	v_fmac_f16_e32 v133, 0x34f2, v79
	v_fmac_f16_e32 v32, 0x34f2, v79
	v_fmac_f16_e32 v61, 0x34f2, v82
	v_fmac_f16_e32 v119, 0x34f2, v82
	v_fmac_f16_e32 v112, 0xbb9c, v130
	v_pack_b32_f16 v62, v101, v136
	v_add_nc_u16 v2, v6, v2
	v_pack_b32_f16 v4, v133, v61
	v_pack_b32_f16 v5, v32, v119
	v_lshlrev_b64 v[0:1], 2, v[29:30]
	v_fmac_f16_e32 v112, 0xb8b4, v134
	ds_write2_b32 v56, v3, v62 offset1:15
	ds_write2_b32 v56, v4, v5 offset0:30 offset1:45
	v_mul_lo_u16 v4, 0x4b, v54
	v_lshrrev_b16 v29, 6, v2
	v_add_co_u32 v31, s0, s8, v0
	v_fmac_f16_e32 v23, 0x34f2, v122
	v_fmac_f16_e32 v112, 0x34f2, v92
	v_add_co_ci_u32_e64 v32, s0, s9, v1, s0
	v_mov_b32_e32 v0, 9
	v_sub_nc_u16 v55, v47, v4
	v_mul_lo_u16 v1, 0x4b, v29
	v_pack_b32_f16 v3, v23, v112
	v_cmp_lt_u32_e64 s0, 0x4a, v24
	v_mul_u32_u24_sdwa v2, v55, v0 dst_sel:DWORD dst_unused:UNUSED_PAD src0_sel:BYTE_0 src1_sel:DWORD
	v_sub_nc_u16 v53, v48, v1
	ds_write_b32 v56, v3 offset:240
	s_waitcnt lgkmcnt(0)
	s_barrier
	v_lshlrev_b32_e32 v56, 2, v2
	v_mul_u32_u24_sdwa v0, v53, v0 dst_sel:DWORD dst_unused:UNUSED_PAD src0_sel:WORD_0 src1_sel:DWORD
	buffer_gl0_inv
	global_load_dwordx4 v[12:15], v[31:32], off offset:288
	v_lshlrev_b32_sdwa v55, v52, v55 dst_sel:DWORD dst_unused:UNUSED_PAD src0_sel:DWORD src1_sel:BYTE_0
	global_load_dwordx4 v[8:11], v56, s[8:9] offset:288
	v_lshlrev_b32_e32 v58, 2, v0
	s_clause 0x5
	global_load_dwordx4 v[4:7], v58, s[8:9] offset:288
	global_load_dwordx4 v[0:3], v[31:32], off offset:304
	global_load_dwordx4 v[20:23], v56, s[8:9] offset:304
	global_load_dwordx4 v[16:19], v58, s[8:9] offset:304
	global_load_dword v57, v[31:32], off offset:320
	global_load_dword v56, v56, s[8:9] offset:320
	v_cndmask_b32_e64 v31, 0, 0xbb8, s0
	v_lshlrev_b32_e32 v32, 2, v64
	v_add3_u32 v59, 0, v31, v32
	ds_read2_b32 v[31:32], v35 offset0:122 offset1:247
	ds_read2_b32 v[65:66], v46 offset0:110 offset1:235
	;; [unrolled: 1-line block ×4, first 2 shown]
	ds_read_u16 v62, v33 offset:4502
	ds_read2_b32 v[71:72], v43 offset0:104 offset1:229
	ds_read2_b32 v[73:74], v25 offset0:98 offset1:223
	;; [unrolled: 1-line block ×9, first 2 shown]
	ds_read2_b32 v[89:90], v33 offset1:125
	ds_read2_b32 v[91:92], v42 offset0:44 offset1:169
	global_load_dword v95, v58, s[8:9] offset:320
	s_waitcnt vmcnt(0) lgkmcnt(0)
	s_barrier
	v_add_nc_u32_e32 v93, 0x400, v59
	v_lshrrev_b32_e32 v96, 16, v32
	v_lshrrev_b32_e32 v97, 16, v65
	;; [unrolled: 1-line block ×26, first 2 shown]
	v_add_nc_u32_e32 v94, 0x600, v59
	buffer_gl0_inv
	v_lshrrev_b32_e32 v63, 16, v90
	v_mul_f16_sdwa v122, v12, v32 dst_sel:DWORD dst_unused:UNUSED_PAD src0_sel:WORD_1 src1_sel:DWORD
	v_mul_f16_sdwa v123, v12, v96 dst_sel:DWORD dst_unused:UNUSED_PAD src0_sel:WORD_1 src1_sel:DWORD
	;; [unrolled: 1-line block ×5, first 2 shown]
	v_mul_f16_sdwa v127, v67, v15 dst_sel:DWORD dst_unused:UNUSED_PAD src0_sel:DWORD src1_sel:WORD_1
	v_mul_f16_sdwa v128, v62, v14 dst_sel:DWORD dst_unused:UNUSED_PAD src0_sel:DWORD src1_sel:WORD_1
	;; [unrolled: 1-line block ×16, first 2 shown]
	v_fma_f16 v96, v12, v96, -v122
	v_mul_f16_sdwa v122, v74, v6 dst_sel:DWORD dst_unused:UNUSED_PAD src0_sel:DWORD src1_sel:WORD_1
	v_fma_f16 v97, v13, v97, -v124
	v_mul_f16_sdwa v124, v75, v7 dst_sel:DWORD dst_unused:UNUSED_PAD src0_sel:DWORD src1_sel:WORD_1
	;; [unrolled: 2-line block ×4, first 2 shown]
	v_fmac_f16_e32 v123, v12, v32
	v_fmac_f16_e32 v125, v13, v65
	;; [unrolled: 1-line block ×4, first 2 shown]
	v_mul_f16_sdwa v32, v76, v0 dst_sel:DWORD dst_unused:UNUSED_PAD src0_sel:DWORD src1_sel:WORD_1
	v_mul_f16_sdwa v65, v77, v1 dst_sel:DWORD dst_unused:UNUSED_PAD src0_sel:DWORD src1_sel:WORD_1
	;; [unrolled: 1-line block ×4, first 2 shown]
	v_fmac_f16_e32 v130, v66, v9
	v_mul_f16_sdwa v66, v81, v3 dst_sel:DWORD dst_unused:UNUSED_PAD src0_sel:DWORD src1_sel:WORD_1
	v_mul_f16_sdwa v139, v109, v2 dst_sel:DWORD dst_unused:UNUSED_PAD src0_sel:DWORD src1_sel:WORD_1
	v_fmac_f16_e32 v131, v68, v11
	v_mul_f16_sdwa v68, v110, v3 dst_sel:DWORD dst_unused:UNUSED_PAD src0_sel:DWORD src1_sel:WORD_1
	v_fma_f16 v14, v99, v9, -v132
	v_fma_f16 v102, v102, v10, -v135
	v_fmac_f16_e32 v136, v73, v10
	v_mul_f16_sdwa v9, v115, v16 dst_sel:DWORD dst_unused:UNUSED_PAD src0_sel:DWORD src1_sel:WORD_1
	v_fmac_f16_e32 v58, v70, v4
	v_mul_f16_sdwa v70, v84, v16 dst_sel:DWORD dst_unused:UNUSED_PAD src0_sel:DWORD src1_sel:WORD_1
	v_fma_f16 v4, v103, v4, -v137
	v_fma_f16 v10, v104, v5, -v138
	v_mul_f16_sdwa v103, v119, v57 dst_sel:DWORD dst_unused:UNUSED_PAD src0_sel:DWORD src1_sel:WORD_1
	v_mul_f16_sdwa v104, v88, v57 dst_sel:DWORD dst_unused:UNUSED_PAD src0_sel:DWORD src1_sel:WORD_1
	;; [unrolled: 1-line block ×3, first 2 shown]
	v_fma_f16 v15, v100, v11, -v133
	v_fma_f16 v13, v101, v8, -v134
	v_mul_f16_sdwa v132, v83, v20 dst_sel:DWORD dst_unused:UNUSED_PAD src0_sel:DWORD src1_sel:WORD_1
	v_fmac_f16_e32 v64, v69, v8
	v_mul_f16_sdwa v69, v113, v20 dst_sel:DWORD dst_unused:UNUSED_PAD src0_sel:DWORD src1_sel:WORD_1
	v_mul_f16_sdwa v73, v85, v22 dst_sel:DWORD dst_unused:UNUSED_PAD src0_sel:DWORD src1_sel:WORD_1
	v_mul_f16_sdwa v133, v114, v22 dst_sel:DWORD dst_unused:UNUSED_PAD src0_sel:DWORD src1_sel:WORD_1
	v_mul_f16_sdwa v11, v116, v17 dst_sel:DWORD dst_unused:UNUSED_PAD src0_sel:DWORD src1_sel:WORD_1
	v_fmac_f16_e32 v61, v71, v5
	v_mul_f16_sdwa v8, v117, v18 dst_sel:DWORD dst_unused:UNUSED_PAD src0_sel:DWORD src1_sel:WORD_1
	v_mul_f16_sdwa v71, v79, v17 dst_sel:DWORD dst_unused:UNUSED_PAD src0_sel:DWORD src1_sel:WORD_1
	v_fmac_f16_e32 v60, v74, v6
	v_mul_f16_sdwa v74, v86, v18 dst_sel:DWORD dst_unused:UNUSED_PAD src0_sel:DWORD src1_sel:WORD_1
	v_mul_f16_sdwa v134, v87, v19 dst_sel:DWORD dst_unused:UNUSED_PAD src0_sel:DWORD src1_sel:WORD_1
	;; [unrolled: 1-line block ×3, first 2 shown]
	v_fma_f16 v5, v105, v6, -v122
	v_fma_f16 v6, v106, v7, -v124
	v_mul_f16_sdwa v105, v91, v56 dst_sel:DWORD dst_unused:UNUSED_PAD src0_sel:DWORD src1_sel:WORD_1
	v_fmac_f16_e32 v62, v75, v7
	v_mul_f16_sdwa v7, v120, v56 dst_sel:DWORD dst_unused:UNUSED_PAD src0_sel:DWORD src1_sel:WORD_1
	v_fmac_f16_e32 v127, v76, v0
	v_fma_f16 v32, v107, v0, -v32
	v_fma_f16 v65, v108, v1, -v65
	;; [unrolled: 1-line block ×4, first 2 shown]
	v_fmac_f16_e32 v67, v77, v1
	v_fmac_f16_e32 v139, v80, v2
	;; [unrolled: 1-line block ×4, first 2 shown]
	v_fma_f16 v1, v115, v16, -v70
	v_fmac_f16_e32 v103, v88, v57
	v_fma_f16 v16, v119, v57, -v104
	v_mul_f16_sdwa v140, v111, v21 dst_sel:DWORD dst_unused:UNUSED_PAD src0_sel:DWORD src1_sel:WORD_1
	v_mul_f16_sdwa v100, v78, v21 dst_sel:DWORD dst_unused:UNUSED_PAD src0_sel:DWORD src1_sel:WORD_1
	;; [unrolled: 1-line block ×3, first 2 shown]
	v_fmac_f16_e32 v99, v82, v23
	v_fma_f16 v75, v113, v20, -v132
	v_fma_f16 v73, v114, v22, -v73
	v_fmac_f16_e32 v69, v83, v20
	v_fmac_f16_e32 v133, v85, v22
	;; [unrolled: 1-line block ×4, first 2 shown]
	v_fma_f16 v2, v116, v17, -v71
	v_fma_f16 v0, v117, v18, -v74
	;; [unrolled: 1-line block ×3, first 2 shown]
	v_fmac_f16_e32 v12, v87, v19
	v_fma_f16 v17, v120, v56, -v105
	v_fmac_f16_e32 v7, v91, v56
	v_sub_f16_e32 v18, v125, v129
	v_sub_f16_e32 v19, v68, v67
	;; [unrolled: 1-line block ×8, first 2 shown]
	v_add_f16_e32 v74, v98, v65
	v_sub_f16_e32 v76, v129, v125
	v_sub_f16_e32 v77, v67, v68
	v_add_f16_e32 v79, v121, v97
	v_sub_f16_e32 v80, v98, v97
	v_sub_f16_e32 v81, v65, v66
	v_add_f16_e32 v82, v127, v139
	v_add_f16_e32 v84, v123, v128
	;; [unrolled: 1-line block ×7, first 2 shown]
	v_fmac_f16_e32 v140, v78, v21
	v_fma_f16 v21, v111, v21, -v100
	v_fma_f16 v23, v112, v23, -v101
	v_add_f16_e32 v78, v97, v66
	v_add_f16_e32 v83, v128, v103
	v_sub_f16_e32 v85, v127, v128
	v_sub_f16_e32 v86, v139, v103
	;; [unrolled: 1-line block ×6, first 2 shown]
	v_add_f16_e32 v114, v125, v68
	v_sub_f16_e32 v97, v97, v66
	v_sub_f16_e32 v115, v128, v103
	;; [unrolled: 1-line block ×3, first 2 shown]
	v_add_f16_e32 v18, v18, v19
	v_add_f16_e32 v19, v20, v22
	v_add_f16_e32 v20, v56, v57
	v_add_f16_e32 v22, v70, v71
	v_add_f16_e32 v56, v76, v77
	v_fma_f16 v57, -0.5, v74, v121
	v_add_f16_e32 v70, v80, v81
	v_fma_f16 v71, -0.5, v82, v123
	v_fma_f16 v76, -0.5, v87, v96
	v_fmac_f16_e32 v96, -0.5, v88
	v_add_f16_e32 v80, v107, v129
	v_add_f16_e32 v79, v79, v98
	;; [unrolled: 1-line block ×4, first 2 shown]
	v_fma_f16 v82, -0.5, v108, v89
	v_sub_f16_e32 v101, v72, v16
	v_sub_f16_e32 v109, v129, v67
	;; [unrolled: 1-line block ×3, first 2 shown]
	v_fmac_f16_e32 v123, -0.5, v83
	v_add_f16_e32 v74, v85, v86
	v_fma_f16 v83, -0.5, v114, v89
	v_add_f16_e32 v67, v80, v67
	v_add_f16_e32 v65, v79, v65
	;; [unrolled: 1-line block ×4, first 2 shown]
	v_fmamk_f16 v72, v97, 0xbb9c, v82
	v_fmac_f16_e32 v82, 0x3b9c, v97
	v_fmamk_f16 v81, v113, 0x3b9c, v57
	v_fmac_f16_e32 v57, 0xbb9c, v113
	;; [unrolled: 2-line block ×3, first 2 shown]
	v_fmamk_f16 v87, v111, 0xbb9c, v96
	v_fmamk_f16 v88, v116, 0xbb9c, v71
	v_fmac_f16_e32 v71, 0x3b9c, v116
	v_fmac_f16_e32 v121, -0.5, v78
	v_add_f16_e32 v77, v100, v101
	v_fmamk_f16 v80, v110, 0x3b9c, v83
	v_fmac_f16_e32 v83, 0xbb9c, v110
	v_fmac_f16_e32 v96, 0x3b9c, v111
	v_fmamk_f16 v89, v112, 0x3b9c, v123
	v_add_f16_e32 v67, v67, v68
	v_add_f16_e32 v65, v65, v66
	;; [unrolled: 1-line block ×4, first 2 shown]
	v_fmac_f16_e32 v82, 0x38b4, v110
	v_fmac_f16_e32 v72, 0xb8b4, v110
	;; [unrolled: 1-line block ×9, first 2 shown]
	v_fmamk_f16 v85, v109, 0xbb9c, v121
	v_fmac_f16_e32 v123, 0xbb9c, v112
	v_fmac_f16_e32 v80, 0xb8b4, v97
	;; [unrolled: 1-line block ×13, first 2 shown]
	v_sub_f16_e32 v18, v67, v66
	v_add_f16_e32 v19, v67, v66
	v_sub_f16_e32 v20, v65, v16
	v_add_f16_e32 v16, v65, v16
	v_fmac_f16_e32 v87, 0x34f2, v77
	v_fmac_f16_e32 v121, 0x3b9c, v109
	;; [unrolled: 1-line block ×8, first 2 shown]
	v_pack_b32_f16 v18, v18, v20
	v_mul_f16_e32 v20, 0xb8b4, v76
	v_mul_f16_e32 v22, 0xba79, v76
	;; [unrolled: 1-line block ×4, first 2 shown]
	v_pack_b32_f16 v16, v19, v16
	v_mul_f16_e32 v19, 0xbb9c, v87
	v_mul_f16_e32 v65, 0x34f2, v87
	v_fmac_f16_e32 v121, 0xb8b4, v113
	v_fmac_f16_e32 v85, 0x34f2, v70
	;; [unrolled: 1-line block ×3, first 2 shown]
	v_mul_f16_e32 v66, 0xbb9c, v96
	v_mul_f16_e32 v67, 0xb4f2, v96
	v_fmac_f16_e32 v20, 0xba79, v71
	v_fmac_f16_e32 v22, 0x38b4, v71
	;; [unrolled: 1-line block ×9, first 2 shown]
	v_add_f16_e32 v68, v82, v20
	v_sub_f16_e32 v70, v72, v32
	v_add_f16_e32 v32, v72, v32
	v_sub_f16_e32 v71, v81, v56
	v_sub_f16_e32 v72, v80, v19
	;; [unrolled: 1-line block ×3, first 2 shown]
	v_add_f16_e32 v77, v57, v22
	v_add_f16_e32 v56, v81, v56
	;; [unrolled: 1-line block ×4, first 2 shown]
	v_sub_f16_e32 v22, v57, v22
	v_pack_b32_f16 v57, v68, v77
	v_pack_b32_f16 v68, v70, v71
	;; [unrolled: 1-line block ×3, first 2 shown]
	v_lshrrev_b32_e32 v74, 16, v92
	v_add_f16_e32 v19, v80, v19
	v_add_f16_e32 v65, v85, v65
	v_sub_f16_e32 v66, v83, v66
	v_sub_f16_e32 v20, v82, v20
	;; [unrolled: 1-line block ×3, first 2 shown]
	v_pack_b32_f16 v32, v32, v56
	v_pack_b32_f16 v56, v76, v79
	v_mul_f16_sdwa v79, v74, v95 dst_sel:DWORD dst_unused:UNUSED_PAD src0_sel:DWORD src1_sel:WORD_1
	v_pack_b32_f16 v19, v19, v65
	v_add_f16_e32 v126, v75, v73
	v_pack_b32_f16 v65, v66, v67
	v_pack_b32_f16 v20, v20, v22
	ds_write2_b32 v93, v57, v18 offset0:44 offset1:119
	ds_write2_b32 v94, v68, v70 offset0:66 offset1:141
	ds_write2_b32 v59, v16, v32 offset1:75
	ds_write2_b32 v59, v19, v56 offset0:150 offset1:225
	v_add_nc_u32_e32 v59, 0x800, v59
	v_mul_f16_sdwa v80, v92, v95 dst_sel:DWORD dst_unused:UNUSED_PAD src0_sel:DWORD src1_sel:WORD_1
	v_fmac_f16_e32 v79, v92, v95
	v_add_f16_e32 v106, v90, v130
	v_add_f16_e32 v16, v102, v17
	v_fma_f16 v18, -0.5, v126, v13
	v_add_f16_e32 v19, v13, v102
	v_sub_f16_e32 v66, v136, v7
	ds_write2_b32 v59, v65, v20 offset0:88 offset1:163
	v_fma_f16 v59, v74, v95, -v80
	v_sub_f16_e32 v80, v62, v61
	v_sub_f16_e32 v82, v11, v12
	;; [unrolled: 1-line block ×4, first 2 shown]
	v_add_f16_e32 v104, v131, v140
	v_add_f16_e32 v105, v130, v99
	;; [unrolled: 1-line block ×4, first 2 shown]
	v_sub_f16_e32 v22, v75, v102
	v_sub_f16_e32 v32, v73, v17
	v_fmac_f16_e32 v13, -0.5, v16
	v_sub_f16_e32 v16, v69, v133
	v_sub_f16_e32 v70, v102, v17
	v_add_f16_e32 v80, v80, v82
	v_add_f16_e32 v82, v86, v88
	;; [unrolled: 1-line block ×3, first 2 shown]
	v_sub_f16_e32 v88, v130, v131
	v_sub_f16_e32 v101, v99, v140
	;; [unrolled: 1-line block ×4, first 2 shown]
	v_fmamk_f16 v108, v66, 0x3b9c, v18
	v_add_f16_e32 v19, v19, v75
	v_fma_f16 v78, -0.5, v104, v90
	v_fmac_f16_e32 v90, -0.5, v105
	v_fma_f16 v84, -0.5, v119, v64
	v_add_f16_e32 v22, v22, v32
	v_sub_f16_e32 v32, v75, v73
	v_sub_f16_e32 v72, v14, v23
	v_add_f16_e32 v86, v86, v140
	v_add_f16_e32 v88, v88, v101
	v_sub_f16_e32 v101, v14, v15
	v_sub_f16_e32 v104, v23, v21
	v_add_f16_e32 v105, v122, v69
	v_add_f16_e32 v102, v102, v107
	v_fmac_f16_e32 v108, 0x38b4, v16
	v_add_f16_e32 v19, v19, v73
	v_add_f16_e32 v73, v15, v21
	v_sub_f16_e32 v118, v140, v99
	v_add_f16_e32 v120, v136, v7
	v_sub_f16_e32 v124, v69, v136
	v_sub_f16_e32 v67, v15, v21
	v_add_f16_e32 v86, v86, v99
	v_sub_f16_e32 v99, v130, v99
	v_add_f16_e32 v101, v101, v104
	;; [unrolled: 2-line block ×3, first 2 shown]
	v_sub_f16_e32 v105, v7, v133
	v_fmamk_f16 v75, v70, 0xbb9c, v84
	v_fmac_f16_e32 v108, 0x34f2, v102
	v_add_f16_e32 v17, v19, v17
	v_add_f16_e32 v19, v63, v14
	v_fma_f16 v73, -0.5, v73, v63
	v_fmamk_f16 v107, v72, 0xbb9c, v78
	v_fmac_f16_e32 v78, 0x3b9c, v72
	v_sub_f16_e32 v125, v133, v7
	v_fmac_f16_e32 v64, -0.5, v120
	v_fmamk_f16 v57, v16, 0xbb9c, v13
	v_fmamk_f16 v71, v67, 0x3b9c, v90
	v_fmac_f16_e32 v90, 0xbb9c, v67
	v_sub_f16_e32 v106, v131, v140
	v_add_f16_e32 v7, v104, v7
	v_add_f16_e32 v69, v69, v105
	v_fmac_f16_e32 v75, 0xb8b4, v32
	v_mul_f16_e32 v104, 0xb8b4, v108
	v_mul_f16_e32 v105, 0x3a79, v108
	v_add_f16_e32 v19, v19, v15
	v_fmamk_f16 v108, v99, 0x3b9c, v73
	v_fmac_f16_e32 v107, 0xb8b4, v67
	v_fmac_f16_e32 v78, 0x38b4, v67
	v_add_f16_e32 v67, v14, v23
	v_fmamk_f16 v68, v32, 0x3b9c, v64
	v_fmac_f16_e32 v75, 0x34f2, v69
	v_add_f16_e32 v19, v19, v21
	v_fmac_f16_e32 v108, 0x38b4, v106
	v_fmac_f16_e32 v63, -0.5, v67
	v_fmac_f16_e32 v57, 0x38b4, v66
	v_add_f16_e32 v56, v124, v125
	v_fmac_f16_e32 v13, 0x3b9c, v16
	v_fmac_f16_e32 v104, 0x3a79, v75
	v_mov_b32_e32 v109, 0xbb8
	v_fmac_f16_e32 v105, 0x38b4, v75
	v_add_f16_e32 v19, v19, v23
	v_fmac_f16_e32 v107, 0x34f2, v88
	v_fmac_f16_e32 v108, 0x34f2, v101
	v_sub_f16_e32 v14, v15, v14
	v_sub_f16_e32 v15, v21, v23
	v_fmamk_f16 v21, v106, 0xbb9c, v63
	v_fmac_f16_e32 v68, 0xb8b4, v70
	v_fmac_f16_e32 v57, 0x34f2, v22
	;; [unrolled: 1-line block ×4, first 2 shown]
	v_mul_u32_u24_sdwa v54, v54, v109 dst_sel:DWORD dst_unused:UNUSED_PAD src0_sel:WORD_0 src1_sel:DWORD
	v_add_f16_e32 v75, v86, v7
	v_add_f16_e32 v110, v19, v17
	v_add_f16_e32 v111, v107, v104
	v_add_f16_e32 v112, v108, v105
	v_add_f16_e32 v14, v14, v15
	v_fmac_f16_e32 v21, 0x38b4, v99
	v_fmac_f16_e32 v68, 0x34f2, v56
	v_mul_f16_e32 v15, 0x34f2, v57
	v_fmac_f16_e32 v64, 0x38b4, v70
	v_fmac_f16_e32 v13, 0x34f2, v22
	v_add_f16_e32 v20, v62, v11
	v_add3_u32 v54, 0, v54, v55
	v_pack_b32_f16 v55, v75, v110
	v_pack_b32_f16 v75, v111, v112
	v_fmac_f16_e32 v21, 0x34f2, v14
	v_fmac_f16_e32 v15, 0x3b9c, v68
	;; [unrolled: 1-line block ×3, first 2 shown]
	v_mul_f16_e32 v77, 0xbb9c, v13
	v_fma_f16 v20, -0.5, v20, v31
	v_add_f16_e32 v85, v31, v61
	v_sub_f16_e32 v97, v10, v3
	ds_write2_b32 v54, v55, v75 offset1:75
	v_mul_f16_e32 v13, 0xb4f2, v13
	v_add_f16_e32 v55, v21, v15
	v_sub_f16_e32 v15, v21, v15
	v_sub_f16_e32 v21, v61, v62
	;; [unrolled: 1-line block ×4, first 2 shown]
	v_fmac_f16_e32 v77, 0xb4f2, v64
	v_sub_f16_e32 v92, v6, v2
	v_fmac_f16_e32 v13, 0x3b9c, v64
	v_fmamk_f16 v64, v97, 0xbb9c, v20
	v_fmac_f16_e32 v20, 0x3b9c, v97
	v_add_f16_e32 v21, v21, v56
	v_add_f16_e32 v56, v85, v62
	;; [unrolled: 1-line block ×3, first 2 shown]
	v_fmac_f16_e32 v90, 0x38b4, v72
	v_lshrrev_b32_e32 v83, 16, v31
	v_fmac_f16_e32 v64, 0xb8b4, v92
	v_fmac_f16_e32 v20, 0x38b4, v92
	v_add_f16_e32 v56, v56, v11
	v_fmac_f16_e32 v90, 0x34f2, v76
	v_fmac_f16_e32 v18, 0xbb9c, v66
	v_fmac_f16_e32 v64, 0x34f2, v21
	v_fmac_f16_e32 v20, 0x34f2, v21
	v_add_f16_e32 v21, v56, v12
	v_add_f16_e32 v56, v83, v10
	;; [unrolled: 1-line block ×4, first 2 shown]
	v_sub_f16_e32 v74, v90, v77
	v_add_f16_e32 v77, v61, v12
	v_add_f16_e32 v81, v9, v8
	v_sub_f16_e32 v12, v61, v12
	v_sub_f16_e32 v61, v10, v6
	;; [unrolled: 1-line block ×3, first 2 shown]
	v_add_f16_e32 v56, v56, v6
	v_fma_f16 v66, -0.5, v66, v83
	v_sub_f16_e32 v11, v62, v11
	v_add_f16_e32 v62, v10, v3
	v_fmac_f16_e32 v31, -0.5, v77
	v_fma_f16 v77, -0.5, v81, v58
	v_add_f16_e32 v81, v60, v79
	v_add_f16_e32 v87, v1, v0
	;; [unrolled: 1-line block ×6, first 2 shown]
	v_fmamk_f16 v67, v12, 0x3b9c, v66
	v_fmac_f16_e32 v66, 0xbb9c, v12
	v_fmac_f16_e32 v83, -0.5, v62
	v_sub_f16_e32 v6, v6, v10
	v_sub_f16_e32 v2, v2, v3
	v_fmac_f16_e32 v58, -0.5, v81
	v_fma_f16 v81, -0.5, v87, v4
	v_add_f16_e32 v93, v4, v5
	v_fmac_f16_e32 v4, -0.5, v90
	v_sub_f16_e32 v90, v9, v8
	v_sub_f16_e32 v96, v60, v79
	v_add_f16_e32 v10, v56, v3
	v_fmac_f16_e32 v67, 0x38b4, v11
	v_fmac_f16_e32 v66, 0xb8b4, v11
	v_fmamk_f16 v3, v11, 0xbb9c, v83
	v_fmac_f16_e32 v83, 0x3b9c, v11
	v_add_f16_e32 v2, v6, v2
	v_add_f16_e32 v6, v89, v9
	v_sub_f16_e32 v9, v60, v9
	v_sub_f16_e32 v11, v79, v8
	v_fmac_f16_e32 v63, 0x3b9c, v106
	v_fmac_f16_e32 v84, 0x3b9c, v70
	;; [unrolled: 1-line block ×3, first 2 shown]
	v_sub_f16_e32 v87, v1, v5
	v_sub_f16_e32 v100, v5, v59
	v_add_f16_e32 v6, v6, v8
	v_add_f16_e32 v8, v9, v11
	v_sub_f16_e32 v5, v5, v1
	v_sub_f16_e32 v9, v59, v0
	v_fmamk_f16 v11, v96, 0x3b9c, v81
	v_fmac_f16_e32 v81, 0xbb9c, v96
	v_sub_f16_e32 v91, v0, v59
	v_sub_f16_e32 v94, v1, v0
	v_fmamk_f16 v95, v90, 0xbb9c, v4
	v_fmac_f16_e32 v4, 0x3b9c, v90
	v_fmac_f16_e32 v73, 0xbb9c, v99
	;; [unrolled: 1-line block ×5, first 2 shown]
	v_fmamk_f16 v56, v100, 0xbb9c, v77
	v_fmac_f16_e32 v77, 0x3b9c, v100
	v_add_f16_e32 v5, v5, v9
	v_fmac_f16_e32 v11, 0x38b4, v90
	v_fmac_f16_e32 v81, 0xb8b4, v90
	v_add_f16_e32 v87, v87, v91
	v_fmamk_f16 v98, v94, 0x3b9c, v58
	v_fmac_f16_e32 v58, 0xbb9c, v94
	v_fmac_f16_e32 v4, 0xb8b4, v96
	;; [unrolled: 1-line block ×7, first 2 shown]
	v_mul_f16_e32 v14, 0xbb9c, v57
	v_mul_f16_e32 v16, 0xb8b4, v18
	;; [unrolled: 1-line block ×3, first 2 shown]
	v_fmac_f16_e32 v3, 0x38b4, v12
	v_fmac_f16_e32 v83, 0xb8b4, v12
	;; [unrolled: 1-line block ×4, first 2 shown]
	v_add_f16_e32 v1, v93, v1
	v_fmac_f16_e32 v11, 0x34f2, v5
	v_fmac_f16_e32 v81, 0x34f2, v5
	v_fmamk_f16 v91, v92, 0x3b9c, v31
	v_fmac_f16_e32 v31, 0xbb9c, v92
	v_fmac_f16_e32 v58, 0x38b4, v100
	;; [unrolled: 1-line block ×13, first 2 shown]
	v_add_f16_e32 v2, v6, v79
	v_fmac_f16_e32 v56, 0x34f2, v8
	v_fmac_f16_e32 v77, 0x34f2, v8
	v_add_f16_e32 v0, v1, v0
	v_mul_f16_e32 v1, 0xb8b4, v11
	v_mul_f16_e32 v6, 0x3a79, v11
	;; [unrolled: 1-line block ×3, first 2 shown]
	v_fmac_f16_e32 v31, 0x38b4, v97
	v_fmac_f16_e32 v58, 0x34f2, v82
	v_mul_f16_e32 v103, 0xbb9c, v4
	v_fmac_f16_e32 v91, 0xb8b4, v97
	v_fmac_f16_e32 v98, 0x34f2, v82
	v_mul_f16_e32 v5, 0xbb9c, v95
	v_mul_f16_e32 v8, 0x34f2, v95
	;; [unrolled: 1-line block ×3, first 2 shown]
	v_add_f16_e32 v23, v71, v14
	v_sub_f16_e32 v14, v71, v14
	v_add_f16_e32 v32, v78, v16
	v_sub_f16_e32 v16, v78, v16
	;; [unrolled: 2-line block ×4, first 2 shown]
	v_mul_f16_e32 v11, 0xba79, v81
	v_sub_f16_e32 v7, v86, v7
	v_sub_f16_e32 v17, v19, v17
	;; [unrolled: 1-line block ×4, first 2 shown]
	v_fmac_f16_e32 v67, 0x34f2, v61
	v_add_f16_e32 v0, v0, v59
	v_fmac_f16_e32 v1, 0x3a79, v56
	v_fmac_f16_e32 v6, 0x38b4, v56
	;; [unrolled: 1-line block ×11, first 2 shown]
	v_pack_b32_f16 v23, v23, v55
	v_pack_b32_f16 v55, v65, v57
	;; [unrolled: 1-line block ×4, first 2 shown]
	v_mul_u32_u24_sdwa v18, v29, v109 dst_sel:DWORD dst_unused:UNUSED_PAD src0_sel:WORD_0 src1_sel:DWORD
	v_lshlrev_b32_sdwa v29, v52, v53 dst_sel:DWORD dst_unused:UNUSED_PAD src0_sel:DWORD src1_sel:WORD_0
	v_pack_b32_f16 v32, v32, v63
	v_pack_b32_f16 v7, v7, v17
	v_add_nc_u32_e32 v16, 0x400, v54
	v_pack_b32_f16 v17, v22, v19
	v_add_nc_u32_e32 v19, 0x600, v54
	v_add_f16_e32 v12, v21, v2
	v_sub_f16_e32 v2, v21, v2
	v_add_f16_e32 v21, v64, v1
	v_add_f16_e32 v58, v20, v9
	v_sub_f16_e32 v9, v20, v9
	v_add_f16_e32 v20, v10, v0
	v_sub_f16_e32 v0, v10, v0
	v_add_f16_e32 v10, v67, v6
	v_pack_b32_f16 v13, v74, v13
	v_add_nc_u32_e32 v22, 0x800, v54
	v_add_f16_e32 v110, v31, v103
	v_add_f16_e32 v56, v91, v5
	;; [unrolled: 1-line block ×3, first 2 shown]
	v_sub_f16_e32 v3, v3, v8
	v_add_f16_e32 v8, v83, v4
	v_add_f16_e32 v60, v66, v11
	ds_write2_b32 v54, v23, v55 offset0:150 offset1:225
	ds_write2_b32 v16, v32, v7 offset0:44 offset1:119
	;; [unrolled: 1-line block ×4, first 2 shown]
	v_add3_u32 v7, 0, v18, v29
	v_sub_f16_e32 v1, v64, v1
	v_sub_f16_e32 v6, v67, v6
	v_pack_b32_f16 v12, v12, v20
	v_pack_b32_f16 v10, v21, v10
	v_mov_b32_e32 v29, v30
	v_pack_b32_f16 v13, v56, v59
	v_pack_b32_f16 v8, v110, v8
	;; [unrolled: 1-line block ×4, first 2 shown]
	v_add_nc_u32_e32 v2, 0x400, v7
	v_pack_b32_f16 v6, v1, v6
	ds_write2_b32 v7, v12, v10 offset1:75
	ds_write2_b32 v7, v13, v8 offset0:150 offset1:225
	ds_write2_b32 v2, v14, v0 offset0:44 offset1:119
	v_lshlrev_b64 v[0:1], 2, v[28:29]
	v_sub_f16_e32 v5, v91, v5
	v_sub_f16_e32 v31, v31, v103
	;; [unrolled: 1-line block ×4, first 2 shown]
	v_lshlrev_b32_e32 v29, 2, v47
	v_add_co_u32 v0, s0, s8, v0
	v_pack_b32_f16 v3, v5, v3
	v_add_nc_u32_e32 v5, 0x600, v7
	v_add_co_ci_u32_e64 v1, s0, s9, v1, s0
	v_add_co_u32 v0, s0, 0x800, v0
	ds_write2_b32 v5, v6, v3 offset0:66 offset1:141
	v_pack_b32_f16 v2, v31, v4
	v_pack_b32_f16 v3, v9, v11
	v_add_nc_u32_e32 v4, 0x800, v7
	v_add_co_ci_u32_e64 v1, s0, 0, v1, s0
	ds_write2_b32 v4, v2, v3 offset0:88 offset1:163
	s_waitcnt lgkmcnt(0)
	s_barrier
	buffer_gl0_inv
	global_load_dwordx4 v[4:7], v[0:1], off offset:940
	v_lshlrev_b64 v[0:1], 2, v[29:30]
	v_lshlrev_b32_e32 v29, 2, v48
	v_add_co_u32 v0, s0, s8, v0
	v_add_co_ci_u32_e64 v1, s0, s9, v1, s0
	v_add_co_u32 v0, s0, 0x800, v0
	v_add_co_ci_u32_e64 v1, s0, 0, v1, s0
	global_load_dwordx4 v[8:11], v[0:1], off offset:940
	v_lshlrev_b64 v[0:1], 2, v[29:30]
	v_lshlrev_b32_e32 v29, 2, v49
	v_add_co_u32 v0, s0, s8, v0
	v_add_co_ci_u32_e64 v1, s0, s9, v1, s0
	v_lshlrev_b64 v[2:3], 2, v[29:30]
	v_add_co_u32 v0, s0, 0x800, v0
	v_add_co_ci_u32_e64 v1, s0, 0, v1, s0
	v_lshlrev_b32_e32 v29, 2, v51
	global_load_dwordx4 v[12:15], v[0:1], off offset:940
	v_add_co_u32 v0, s0, s8, v2
	v_add_co_ci_u32_e64 v1, s0, s9, v3, s0
	v_add_co_u32 v0, s0, 0x800, v0
	v_add_co_ci_u32_e64 v1, s0, 0, v1, s0
	global_load_dwordx4 v[69:72], v[0:1], off offset:940
	v_lshlrev_b64 v[0:1], 2, v[29:30]
	v_lshlrev_b32_e32 v29, 2, v50
	v_add_co_u32 v0, s0, s8, v0
	v_add_co_ci_u32_e64 v1, s0, s9, v1, s0
	v_add_co_u32 v0, s0, 0x800, v0
	v_add_co_ci_u32_e64 v1, s0, 0, v1, s0
	global_load_dwordx4 v[73:76], v[0:1], off offset:940
	v_lshlrev_b64 v[0:1], 2, v[29:30]
	v_add_co_u32 v0, s0, s8, v0
	v_add_co_ci_u32_e64 v1, s0, s9, v1, s0
	v_add_co_u32 v0, s0, 0x800, v0
	v_add_co_ci_u32_e64 v1, s0, 0, v1, s0
	global_load_dwordx4 v[0:3], v[0:1], off offset:940
	ds_read2_b32 v[16:17], v40 offset0:56 offset1:181
	ds_read2_b32 v[18:19], v46 offset0:110 offset1:235
	;; [unrolled: 1-line block ×9, first 2 shown]
	s_waitcnt lgkmcnt(8)
	v_lshrrev_b32_e32 v50, 16, v17
	s_waitcnt lgkmcnt(7)
	v_lshrrev_b32_e32 v28, 16, v18
	;; [unrolled: 2-line block ×4, first 2 shown]
	v_lshrrev_b32_e32 v32, 16, v19
	v_lshrrev_b32_e32 v47, 16, v21
	;; [unrolled: 1-line block ×4, first 2 shown]
	s_waitcnt vmcnt(5)
	v_mul_f16_sdwa v53, v4, v28 dst_sel:DWORD dst_unused:UNUSED_PAD src0_sel:WORD_1 src1_sel:DWORD
	v_mul_f16_sdwa v49, v4, v18 dst_sel:DWORD dst_unused:UNUSED_PAD src0_sel:WORD_1 src1_sel:DWORD
	;; [unrolled: 1-line block ×4, first 2 shown]
	v_mul_f16_sdwa v59, v31, v7 dst_sel:DWORD dst_unused:UNUSED_PAD src0_sel:DWORD src1_sel:WORD_1
	v_fmac_f16_e32 v53, v4, v18
	v_fma_f16 v54, v4, v28, -v49
	v_mul_f16_sdwa v4, v5, v20 dst_sel:DWORD dst_unused:UNUSED_PAD src0_sel:WORD_1 src1_sel:DWORD
	v_fmac_f16_e32 v55, v5, v20
	v_mul_f16_sdwa v18, v6, v22 dst_sel:DWORD dst_unused:UNUSED_PAD src0_sel:WORD_1 src1_sel:DWORD
	v_fmac_f16_e32 v61, v6, v22
	v_mul_f16_sdwa v20, v16, v7 dst_sel:DWORD dst_unused:UNUSED_PAD src0_sel:DWORD src1_sel:WORD_1
	v_fma_f16 v57, v5, v29, -v4
	ds_read2_b32 v[4:5], v43 offset0:104 offset1:229
	v_fma_f16 v58, v6, v51, -v18
	ds_read2_b32 v[28:29], v38 offset0:86 offset1:211
	v_fma_f16 v62, v31, v7, -v20
	v_fmac_f16_e32 v59, v16, v7
	v_sub_f16_e32 v89, v55, v61
	s_waitcnt vmcnt(4)
	v_mul_f16_sdwa v60, v32, v8 dst_sel:DWORD dst_unused:UNUSED_PAD src0_sel:DWORD src1_sel:WORD_1
	v_mul_f16_sdwa v6, v19, v8 dst_sel:DWORD dst_unused:UNUSED_PAD src0_sel:DWORD src1_sel:WORD_1
	;; [unrolled: 1-line block ×5, first 2 shown]
	v_fmac_f16_e32 v60, v19, v8
	v_fma_f16 v56, v32, v8, -v6
	v_mul_f16_sdwa v6, v21, v9 dst_sel:DWORD dst_unused:UNUSED_PAD src0_sel:DWORD src1_sel:WORD_1
	v_mul_f16_sdwa v8, v17, v11 dst_sel:DWORD dst_unused:UNUSED_PAD src0_sel:DWORD src1_sel:WORD_1
	v_fmac_f16_e32 v68, v17, v11
	v_mul_f16_sdwa v7, v23, v10 dst_sel:DWORD dst_unused:UNUSED_PAD src0_sel:DWORD src1_sel:WORD_1
	v_fmac_f16_e32 v66, v23, v10
	v_fma_f16 v63, v47, v9, -v6
	v_fma_f16 v67, v50, v11, -v8
	s_waitcnt lgkmcnt(1)
	v_lshrrev_b32_e32 v6, 16, v4
	v_lshrrev_b32_e32 v11, 16, v79
	v_fma_f16 v64, v48, v10, -v7
	s_waitcnt lgkmcnt(0)
	v_lshrrev_b32_e32 v7, 16, v28
	v_fmac_f16_e32 v65, v21, v9
	s_waitcnt vmcnt(3)
	v_mul_f16_sdwa v8, v4, v12 dst_sel:DWORD dst_unused:UNUSED_PAD src0_sel:DWORD src1_sel:WORD_1
	v_mul_f16_sdwa v51, v6, v12 dst_sel:DWORD dst_unused:UNUSED_PAD src0_sel:DWORD src1_sel:WORD_1
	;; [unrolled: 1-line block ×3, first 2 shown]
	v_lshrrev_b32_e32 v9, 16, v77
	v_mul_f16_sdwa v16, v77, v14 dst_sel:DWORD dst_unused:UNUSED_PAD src0_sel:DWORD src1_sel:WORD_1
	v_fma_f16 v31, v6, v12, -v8
	v_mul_f16_sdwa v6, v79, v15 dst_sel:DWORD dst_unused:UNUSED_PAD src0_sel:DWORD src1_sel:WORD_1
	v_fmac_f16_e32 v51, v4, v12
	v_fma_f16 v48, v7, v13, -v10
	v_lshrrev_b32_e32 v8, 16, v29
	v_mul_f16_sdwa v49, v7, v13 dst_sel:DWORD dst_unused:UNUSED_PAD src0_sel:DWORD src1_sel:WORD_1
	v_fma_f16 v47, v11, v15, -v6
	v_lshrrev_b32_e32 v6, 16, v5
	s_waitcnt vmcnt(2)
	v_mul_f16_sdwa v4, v5, v69 dst_sel:DWORD dst_unused:UNUSED_PAD src0_sel:DWORD src1_sel:WORD_1
	v_mul_f16_sdwa v10, v78, v71 dst_sel:DWORD dst_unused:UNUSED_PAD src0_sel:DWORD src1_sel:WORD_1
	v_fma_f16 v32, v9, v14, -v16
	v_mul_f16_sdwa v50, v9, v14 dst_sel:DWORD dst_unused:UNUSED_PAD src0_sel:DWORD src1_sel:WORD_1
	v_mul_f16_sdwa v19, v6, v69 dst_sel:DWORD dst_unused:UNUSED_PAD src0_sel:DWORD src1_sel:WORD_1
	v_fma_f16 v18, v6, v69, -v4
	v_mul_f16_sdwa v4, v29, v70 dst_sel:DWORD dst_unused:UNUSED_PAD src0_sel:DWORD src1_sel:WORD_1
	v_mul_f16_sdwa v20, v8, v70 dst_sel:DWORD dst_unused:UNUSED_PAD src0_sel:DWORD src1_sel:WORD_1
	v_lshrrev_b32_e32 v9, 16, v80
	v_fmac_f16_e32 v19, v5, v69
	v_lshrrev_b32_e32 v5, 16, v78
	v_fma_f16 v21, v8, v70, -v4
	v_mul_f16_sdwa v4, v80, v72 dst_sel:DWORD dst_unused:UNUSED_PAD src0_sel:DWORD src1_sel:WORD_1
	v_fmac_f16_e32 v49, v28, v13
	ds_read2_b32 v[6:7], v42 offset0:44 offset1:169
	v_mul_f16_sdwa v22, v5, v71 dst_sel:DWORD dst_unused:UNUSED_PAD src0_sel:DWORD src1_sel:WORD_1
	v_fma_f16 v23, v5, v71, -v10
	v_lshrrev_b32_e32 v5, 16, v81
	v_fmac_f16_e32 v20, v29, v70
	s_waitcnt vmcnt(1)
	v_mul_f16_sdwa v8, v81, v73 dst_sel:DWORD dst_unused:UNUSED_PAD src0_sel:DWORD src1_sel:WORD_1
	v_mul_f16_sdwa v29, v9, v72 dst_sel:DWORD dst_unused:UNUSED_PAD src0_sel:DWORD src1_sel:WORD_1
	v_fma_f16 v28, v9, v72, -v4
	v_lshrrev_b32_e32 v4, 16, v83
	v_mul_f16_sdwa v9, v83, v74 dst_sel:DWORD dst_unused:UNUSED_PAD src0_sel:DWORD src1_sel:WORD_1
	v_fma_f16 v10, v5, v73, -v8
	v_mul_f16_sdwa v13, v5, v73 dst_sel:DWORD dst_unused:UNUSED_PAD src0_sel:DWORD src1_sel:WORD_1
	v_lshrrev_b32_e32 v8, 16, v85
	v_mul_f16_sdwa v5, v85, v75 dst_sel:DWORD dst_unused:UNUSED_PAD src0_sel:DWORD src1_sel:WORD_1
	v_mul_f16_sdwa v52, v11, v15 dst_sel:DWORD dst_unused:UNUSED_PAD src0_sel:DWORD src1_sel:WORD_1
	v_fmac_f16_e32 v50, v77, v14
	v_fma_f16 v11, v4, v74, -v9
	v_mul_f16_sdwa v14, v4, v74 dst_sel:DWORD dst_unused:UNUSED_PAD src0_sel:DWORD src1_sel:WORD_1
	v_fma_f16 v12, v8, v75, -v5
	ds_read2_b32 v[4:5], v33 offset1:125
	v_fmac_f16_e32 v52, v79, v15
	v_fmac_f16_e32 v22, v78, v71
	s_waitcnt lgkmcnt(1)
	v_lshrrev_b32_e32 v9, 16, v6
	v_mul_f16_sdwa v15, v6, v76 dst_sel:DWORD dst_unused:UNUSED_PAD src0_sel:DWORD src1_sel:WORD_1
	v_lshrrev_b32_e32 v71, 16, v82
	v_fmac_f16_e32 v29, v80, v72
	v_fmac_f16_e32 v13, v81, v73
	v_mul_f16_sdwa v17, v9, v76 dst_sel:DWORD dst_unused:UNUSED_PAD src0_sel:DWORD src1_sel:WORD_1
	v_fma_f16 v15, v9, v76, -v15
	s_waitcnt vmcnt(0)
	v_mul_f16_sdwa v9, v71, v0 dst_sel:DWORD dst_unused:UNUSED_PAD src0_sel:DWORD src1_sel:WORD_1
	v_mul_f16_sdwa v73, v82, v0 dst_sel:DWORD dst_unused:UNUSED_PAD src0_sel:DWORD src1_sel:WORD_1
	;; [unrolled: 1-line block ×3, first 2 shown]
	v_fmac_f16_e32 v17, v6, v76
	v_lshrrev_b32_e32 v76, 16, v7
	v_fmac_f16_e32 v9, v82, v0
	v_lshrrev_b32_e32 v72, 16, v84
	;; [unrolled: 2-line block ×3, first 2 shown]
	v_fmac_f16_e32 v16, v85, v75
	s_waitcnt lgkmcnt(0)
	v_lshrrev_b32_e32 v69, 16, v4
	v_lshrrev_b32_e32 v78, 16, v5
	v_add_f16_e32 v79, v4, v53
	v_add_f16_e32 v81, v5, v60
	v_mul_f16_sdwa v75, v84, v1 dst_sel:DWORD dst_unused:UNUSED_PAD src0_sel:DWORD src1_sel:WORD_1
	v_add_f16_e32 v80, v69, v54
	v_add_f16_e32 v82, v78, v56
	;; [unrolled: 1-line block ×4, first 2 shown]
	v_mul_f16_sdwa v77, v86, v2 dst_sel:DWORD dst_unused:UNUSED_PAD src0_sel:DWORD src1_sel:WORD_1
	v_add_f16_e32 v80, v80, v57
	v_add_f16_e32 v82, v82, v63
	v_mul_f16_sdwa v70, v76, v3 dst_sel:DWORD dst_unused:UNUSED_PAD src0_sel:DWORD src1_sel:WORD_1
	v_mul_f16_sdwa v83, v7, v3 dst_sel:DWORD dst_unused:UNUSED_PAD src0_sel:DWORD src1_sel:WORD_1
	v_add_f16_e32 v79, v79, v61
	v_add_f16_e32 v80, v80, v58
	;; [unrolled: 1-line block ×4, first 2 shown]
	v_mul_f16_sdwa v8, v72, v1 dst_sel:DWORD dst_unused:UNUSED_PAD src0_sel:DWORD src1_sel:WORD_1
	v_fmac_f16_e32 v70, v7, v3
	v_fma_f16 v7, v71, v0, -v73
	v_add_f16_e32 v0, v79, v59
	v_add_f16_e32 v79, v80, v62
	;; [unrolled: 1-line block ×4, first 2 shown]
	v_fma_f16 v73, v72, v1, -v75
	v_fma_f16 v71, v74, v2, -v77
	;; [unrolled: 1-line block ×3, first 2 shown]
	v_sub_f16_e32 v76, v53, v55
	v_sub_f16_e32 v77, v59, v61
	v_pack_b32_f16 v75, v80, v81
	v_add_f16_e32 v81, v55, v61
	v_mul_f16_sdwa v6, v74, v2 dst_sel:DWORD dst_unused:UNUSED_PAD src0_sel:DWORD src1_sel:WORD_1
	v_sub_f16_e32 v82, v54, v62
	v_add_f16_e32 v76, v76, v77
	v_add_f16_e32 v77, v57, v58
	v_fma_f16 v81, -0.5, v81, v4
	v_sub_f16_e32 v83, v53, v59
	v_fmac_f16_e32 v6, v86, v2
	v_pack_b32_f16 v74, v0, v79
	v_fma_f16 v77, -0.5, v77, v69
	v_sub_f16_e32 v79, v54, v57
	v_sub_f16_e32 v80, v62, v58
	v_fmamk_f16 v86, v82, 0xbb9c, v81
	v_sub_f16_e32 v87, v57, v58
	v_fmamk_f16 v88, v83, 0x3b9c, v77
	v_fmac_f16_e32 v8, v84, v1
	v_add_f16_e32 v79, v79, v80
	v_sub_f16_e32 v80, v60, v65
	v_fmac_f16_e32 v86, 0xb8b4, v87
	v_fmac_f16_e32 v88, 0x38b4, v89
	v_sub_f16_e32 v84, v68, v66
	v_sub_f16_e32 v85, v56, v63
	;; [unrolled: 1-line block ×3, first 2 shown]
	v_fmac_f16_e32 v86, 0x34f2, v76
	v_fmac_f16_e32 v88, 0x34f2, v79
	v_sub_f16_e32 v55, v55, v53
	v_add_f16_e32 v53, v53, v59
	v_add_f16_e32 v90, v65, v66
	;; [unrolled: 1-line block ×3, first 2 shown]
	v_sub_f16_e32 v93, v56, v67
	v_add_f16_e32 v80, v80, v84
	v_add_f16_e32 v84, v85, v91
	v_pack_b32_f16 v85, v86, v88
	v_sub_f16_e32 v61, v61, v59
	v_add_f16_e32 v86, v54, v62
	v_add_f16_e32 v59, v60, v68
	v_fma_f16 v4, -0.5, v53, v4
	v_sub_f16_e32 v53, v63, v56
	v_add_f16_e32 v56, v56, v67
	v_fma_f16 v90, -0.5, v90, v5
	v_fma_f16 v92, -0.5, v92, v78
	v_sub_f16_e32 v94, v60, v68
	v_sub_f16_e32 v96, v63, v64
	;; [unrolled: 1-line block ×3, first 2 shown]
	v_fmac_f16_e32 v69, -0.5, v86
	v_sub_f16_e32 v54, v57, v54
	v_sub_f16_e32 v57, v58, v62
	;; [unrolled: 1-line block ×4, first 2 shown]
	v_fmac_f16_e32 v5, -0.5, v59
	v_fmac_f16_e32 v78, -0.5, v56
	v_fmamk_f16 v95, v93, 0xbb9c, v90
	v_fmamk_f16 v97, v94, 0x3b9c, v92
	v_add_f16_e32 v55, v55, v61
	v_sub_f16_e32 v61, v64, v67
	v_add_f16_e32 v54, v54, v57
	v_fmamk_f16 v57, v87, 0x3b9c, v4
	v_add_f16_e32 v56, v58, v60
	v_fmamk_f16 v58, v89, 0xbb9c, v69
	v_fmamk_f16 v59, v96, 0x3b9c, v5
	;; [unrolled: 1-line block ×3, first 2 shown]
	v_fmac_f16_e32 v5, 0xbb9c, v96
	v_fmac_f16_e32 v78, 0x3b9c, v98
	;; [unrolled: 1-line block ×4, first 2 shown]
	ds_read2_b32 v[2:3], v35 offset0:122 offset1:247
	ds_read2_b32 v[0:1], v37 offset0:116 offset1:241
	v_fmac_f16_e32 v95, 0xb8b4, v96
	v_fmac_f16_e32 v97, 0x38b4, v98
	;; [unrolled: 1-line block ×3, first 2 shown]
	v_add_f16_e32 v53, v53, v61
	v_fmac_f16_e32 v58, 0x38b4, v83
	v_fmac_f16_e32 v59, 0xb8b4, v93
	;; [unrolled: 1-line block ×17, first 2 shown]
	v_pack_b32_f16 v61, v95, v97
	s_waitcnt lgkmcnt(0)
	s_barrier
	buffer_gl0_inv
	v_pack_b32_f16 v57, v57, v58
	v_pack_b32_f16 v58, v59, v60
	ds_write2_b32 v33, v74, v75 offset1:125
	ds_write2_b32 v46, v85, v61 offset0:110 offset1:235
	v_pack_b32_f16 v5, v5, v78
	v_add_f16_e32 v33, v49, v50
	v_pack_b32_f16 v4, v4, v69
	v_sub_f16_e32 v46, v51, v49
	v_sub_f16_e32 v53, v52, v50
	v_add_f16_e32 v55, v51, v52
	ds_write2_b32 v44, v57, v58 offset0:92 offset1:217
	v_fma_f16 v33, -0.5, v33, v2
	v_sub_f16_e32 v44, v31, v47
	v_sub_f16_e32 v56, v48, v32
	ds_write2_b32 v45, v4, v5 offset0:74 offset1:199
	v_add_f16_e32 v4, v46, v53
	v_fma_f16 v5, -0.5, v55, v2
	v_sub_f16_e32 v45, v49, v51
	v_sub_f16_e32 v46, v50, v52
	v_add_f16_e32 v53, v2, v51
	v_fmamk_f16 v54, v44, 0xbb9c, v33
	v_fmac_f16_e32 v33, 0x3b9c, v44
	v_fmamk_f16 v55, v56, 0x3b9c, v5
	v_fmac_f16_e32 v5, 0xbb9c, v56
	v_add_f16_e32 v45, v45, v46
	v_add_f16_e32 v46, v53, v49
	v_fmac_f16_e32 v54, 0xb8b4, v56
	v_fmac_f16_e32 v33, 0x38b4, v56
	;; [unrolled: 1-line block ×4, first 2 shown]
	v_add_f16_e32 v44, v46, v50
	v_lshrrev_b32_e32 v2, 16, v2
	v_fmac_f16_e32 v54, 0x34f2, v4
	v_fmac_f16_e32 v33, 0x34f2, v4
	;; [unrolled: 1-line block ×4, first 2 shown]
	v_add_f16_e32 v4, v44, v52
	v_add_f16_e32 v44, v2, v31
	;; [unrolled: 1-line block ×3, first 2 shown]
	v_sub_f16_e32 v46, v51, v52
	v_sub_f16_e32 v51, v31, v48
	;; [unrolled: 1-line block ×3, first 2 shown]
	v_add_f16_e32 v44, v44, v48
	v_fma_f16 v45, -0.5, v45, v2
	v_sub_f16_e32 v49, v49, v50
	v_add_f16_e32 v50, v31, v47
	v_add_f16_e32 v51, v51, v52
	;; [unrolled: 1-line block ×3, first 2 shown]
	v_fmamk_f16 v52, v46, 0x3b9c, v45
	v_fmac_f16_e32 v45, 0xbb9c, v46
	v_fmac_f16_e32 v2, -0.5, v50
	v_sub_f16_e32 v31, v48, v31
	v_add_f16_e32 v44, v44, v47
	v_fmac_f16_e32 v52, 0x38b4, v49
	v_fmac_f16_e32 v45, 0xb8b4, v49
	v_fmamk_f16 v48, v49, 0xbb9c, v2
	v_sub_f16_e32 v32, v32, v47
	v_fmac_f16_e32 v2, 0x3b9c, v49
	v_add_f16_e32 v47, v20, v22
	v_sub_f16_e32 v49, v19, v20
	v_sub_f16_e32 v50, v29, v22
	v_fmac_f16_e32 v52, 0x34f2, v51
	v_fmac_f16_e32 v45, 0x34f2, v51
	v_add_f16_e32 v31, v31, v32
	v_fma_f16 v32, -0.5, v47, v3
	v_add_f16_e32 v47, v49, v50
	v_add_f16_e32 v49, v19, v29
	v_add_f16_e32 v51, v3, v19
	v_fmac_f16_e32 v48, 0x38b4, v46
	v_fmac_f16_e32 v2, 0xb8b4, v46
	v_sub_f16_e32 v46, v18, v28
	v_lshrrev_b32_e32 v50, 16, v3
	v_sub_f16_e32 v56, v21, v23
	v_fmac_f16_e32 v3, -0.5, v49
	v_add_f16_e32 v51, v51, v20
	v_fmamk_f16 v53, v46, 0xbb9c, v32
	v_fmac_f16_e32 v32, 0x3b9c, v46
	v_sub_f16_e32 v49, v20, v19
	v_sub_f16_e32 v57, v22, v29
	v_fmamk_f16 v58, v56, 0x3b9c, v3
	v_fmac_f16_e32 v3, 0xbb9c, v56
	v_fmac_f16_e32 v48, 0x34f2, v31
	;; [unrolled: 1-line block ×3, first 2 shown]
	v_add_f16_e32 v31, v51, v22
	v_fmac_f16_e32 v53, 0xb8b4, v56
	v_fmac_f16_e32 v32, 0x38b4, v56
	v_add_f16_e32 v49, v49, v57
	v_fmac_f16_e32 v58, 0xb8b4, v46
	v_fmac_f16_e32 v3, 0x38b4, v46
	v_add_f16_e32 v31, v31, v29
	v_add_f16_e32 v46, v50, v18
	v_sub_f16_e32 v19, v19, v29
	v_add_f16_e32 v29, v21, v23
	v_fmac_f16_e32 v53, 0x34f2, v47
	v_fmac_f16_e32 v32, 0x34f2, v47
	v_fmac_f16_e32 v58, 0x34f2, v49
	v_fmac_f16_e32 v3, 0x34f2, v49
	v_sub_f16_e32 v47, v18, v21
	v_sub_f16_e32 v49, v28, v23
	v_add_f16_e32 v46, v46, v21
	v_fma_f16 v29, -0.5, v29, v50
	v_add_f16_e32 v51, v18, v28
	v_sub_f16_e32 v20, v20, v22
	v_add_f16_e32 v22, v47, v49
	v_add_f16_e32 v46, v46, v23
	v_fmamk_f16 v47, v19, 0x3b9c, v29
	v_fmac_f16_e32 v29, 0xbb9c, v19
	v_fmac_f16_e32 v50, -0.5, v51
	v_sub_f16_e32 v18, v21, v18
	v_add_f16_e32 v21, v46, v28
	v_sub_f16_e32 v23, v23, v28
	v_fmac_f16_e32 v47, 0x38b4, v20
	v_fmac_f16_e32 v29, 0xb8b4, v20
	v_add_f16_e32 v46, v14, v16
	v_fmamk_f16 v28, v20, 0xbb9c, v50
	v_fmac_f16_e32 v50, 0x3b9c, v20
	v_fmac_f16_e32 v47, 0x34f2, v22
	v_fmac_f16_e32 v29, 0x34f2, v22
	v_add_f16_e32 v18, v18, v23
	v_fma_f16 v20, -0.5, v46, v0
	v_sub_f16_e32 v22, v10, v15
	v_sub_f16_e32 v23, v13, v14
	v_sub_f16_e32 v46, v17, v16
	v_add_f16_e32 v49, v13, v17
	v_fmac_f16_e32 v28, 0x38b4, v19
	v_fmamk_f16 v51, v22, 0xbb9c, v20
	v_sub_f16_e32 v56, v11, v12
	v_fmac_f16_e32 v50, 0xb8b4, v19
	v_add_f16_e32 v19, v23, v46
	v_fma_f16 v23, -0.5, v49, v0
	v_fmac_f16_e32 v20, 0x3b9c, v22
	v_sub_f16_e32 v46, v14, v13
	v_sub_f16_e32 v49, v16, v17
	v_add_f16_e32 v59, v0, v13
	v_fmac_f16_e32 v51, 0xb8b4, v56
	v_fmamk_f16 v57, v56, 0x3b9c, v23
	v_fmac_f16_e32 v23, 0xbb9c, v56
	v_fmac_f16_e32 v20, 0x38b4, v56
	v_add_f16_e32 v46, v46, v49
	v_add_f16_e32 v49, v59, v14
	v_lshrrev_b32_e32 v0, 16, v0
	v_fmac_f16_e32 v57, 0xb8b4, v22
	v_fmac_f16_e32 v23, 0x38b4, v22
	;; [unrolled: 1-line block ×5, first 2 shown]
	v_add_f16_e32 v18, v49, v16
	v_fmac_f16_e32 v20, 0x34f2, v19
	v_add_f16_e32 v19, v0, v10
	v_add_f16_e32 v22, v11, v12
	v_fmac_f16_e32 v57, 0x34f2, v46
	v_fmac_f16_e32 v23, 0x34f2, v46
	v_add_f16_e32 v18, v18, v17
	v_sub_f16_e32 v13, v13, v17
	v_sub_f16_e32 v17, v10, v11
	v_sub_f16_e32 v46, v15, v12
	v_add_f16_e32 v19, v19, v11
	v_fma_f16 v22, -0.5, v22, v0
	v_sub_f16_e32 v14, v14, v16
	v_add_f16_e32 v16, v10, v15
	v_add_f16_e32 v17, v17, v46
	;; [unrolled: 1-line block ×3, first 2 shown]
	v_fmamk_f16 v46, v13, 0x3b9c, v22
	v_fmac_f16_e32 v22, 0xbb9c, v13
	v_fmac_f16_e32 v0, -0.5, v16
	v_sub_f16_e32 v10, v11, v10
	v_sub_f16_e32 v12, v12, v15
	v_add_f16_e32 v11, v19, v15
	v_fmac_f16_e32 v46, 0x38b4, v14
	v_fmac_f16_e32 v22, 0xb8b4, v14
	v_fmamk_f16 v15, v14, 0xbb9c, v0
	v_fmac_f16_e32 v0, 0x3b9c, v14
	v_sub_f16_e32 v14, v9, v8
	v_sub_f16_e32 v16, v70, v6
	v_add_f16_e32 v10, v10, v12
	v_add_f16_e32 v12, v8, v6
	v_fmac_f16_e32 v15, 0x38b4, v13
	v_fmac_f16_e32 v0, 0xb8b4, v13
	v_add_f16_e32 v13, v14, v16
	v_add_f16_e32 v14, v9, v70
	v_fma_f16 v12, -0.5, v12, v1
	v_sub_f16_e32 v16, v7, v72
	v_fmac_f16_e32 v46, 0x34f2, v17
	v_fmac_f16_e32 v22, 0x34f2, v17
	v_lshrrev_b32_e32 v17, 16, v1
	v_add_f16_e32 v19, v1, v9
	v_fmac_f16_e32 v1, -0.5, v14
	v_sub_f16_e32 v14, v73, v71
	v_fmamk_f16 v49, v16, 0xbb9c, v12
	v_fmac_f16_e32 v12, 0x3b9c, v16
	v_sub_f16_e32 v56, v8, v9
	v_sub_f16_e32 v59, v6, v70
	v_fmamk_f16 v60, v14, 0x3b9c, v1
	v_fmac_f16_e32 v49, 0xb8b4, v14
	v_fmac_f16_e32 v12, 0x38b4, v14
	v_fmac_f16_e32 v1, 0xbb9c, v14
	v_fmac_f16_e32 v81, 0x3b9c, v82
	v_fmac_f16_e32 v77, 0xbb9c, v83
	v_fmac_f16_e32 v49, 0x34f2, v13
	v_fmac_f16_e32 v12, 0x34f2, v13
	v_add_f16_e32 v13, v17, v7
	v_fmac_f16_e32 v90, 0x3b9c, v93
	v_fmac_f16_e32 v92, 0xbb9c, v94
	v_add_f16_e32 v14, v56, v59
	v_fmac_f16_e32 v60, 0xb8b4, v16
	v_add_f16_e32 v19, v19, v8
	;; [unrolled: 2-line block ×3, first 2 shown]
	v_add_f16_e32 v16, v73, v71
	v_add_f16_e32 v56, v7, v72
	v_fmac_f16_e32 v81, 0x38b4, v87
	v_fmac_f16_e32 v77, 0xb8b4, v89
	;; [unrolled: 1-line block ×6, first 2 shown]
	v_add_f16_e32 v10, v19, v6
	v_fmac_f16_e32 v60, 0x34f2, v14
	v_fmac_f16_e32 v1, 0x34f2, v14
	v_sub_f16_e32 v9, v9, v70
	v_sub_f16_e32 v14, v7, v73
	;; [unrolled: 1-line block ×4, first 2 shown]
	v_add_f16_e32 v8, v13, v71
	v_fma_f16 v13, -0.5, v16, v17
	v_fmac_f16_e32 v17, -0.5, v56
	v_fmac_f16_e32 v81, 0x34f2, v76
	v_fmac_f16_e32 v77, 0x34f2, v79
	;; [unrolled: 1-line block ×4, first 2 shown]
	v_add_f16_e32 v14, v14, v19
	v_sub_f16_e32 v7, v73, v7
	v_fmamk_f16 v16, v9, 0x3b9c, v13
	v_fmac_f16_e32 v13, 0xbb9c, v9
	v_sub_f16_e32 v19, v71, v72
	v_fmamk_f16 v56, v6, 0xbb9c, v17
	v_fmac_f16_e32 v17, 0x3b9c, v6
	v_fmac_f16_e32 v16, 0x38b4, v6
	;; [unrolled: 1-line block ×3, first 2 shown]
	v_add_f16_e32 v6, v7, v19
	v_fmac_f16_e32 v56, 0x38b4, v9
	v_fmac_f16_e32 v17, 0xb8b4, v9
	v_pack_b32_f16 v7, v81, v77
	v_pack_b32_f16 v9, v90, v92
	v_add_f16_e32 v10, v10, v70
	v_add_f16_e32 v8, v8, v72
	v_pack_b32_f16 v4, v4, v44
	v_fmac_f16_e32 v16, 0x34f2, v14
	ds_write2_b32 v40, v7, v9 offset0:56 offset1:181
	v_pack_b32_f16 v9, v31, v21
	v_fmac_f16_e32 v13, 0x34f2, v14
	v_fmac_f16_e32 v56, 0x34f2, v6
	;; [unrolled: 1-line block ×3, first 2 shown]
	v_pack_b32_f16 v6, v54, v52
	v_pack_b32_f16 v14, v53, v47
	;; [unrolled: 1-line block ×8, first 2 shown]
	ds_write2_b32 v35, v4, v9 offset0:122 offset1:247
	ds_write2_b32 v43, v6, v14 offset0:104 offset1:229
	;; [unrolled: 1-line block ×5, first 2 shown]
	v_pack_b32_f16 v2, v18, v11
	v_pack_b32_f16 v6, v10, v8
	;; [unrolled: 1-line block ×10, first 2 shown]
	ds_write2_b32 v37, v2, v6 offset0:116 offset1:241
	ds_write2_b32 v25, v3, v7 offset0:98 offset1:223
	;; [unrolled: 1-line block ×5, first 2 shown]
	s_waitcnt lgkmcnt(0)
	s_barrier
	buffer_gl0_inv
	s_and_saveexec_b32 s0, vcc_lo
	s_cbranch_execz .LBB0_19
; %bb.18:
	v_lshl_add_u32 v16, v24, 2, 0
	v_mov_b32_e32 v25, v30
	v_add_nc_u32_e32 v29, 0x7d, v24
	v_add_co_u32 v17, vcc_lo, s2, v26
	ds_read2_b32 v[0:1], v16 offset1:125
	v_add_nc_u32_e32 v6, 0x200, v16
	v_lshlrev_b64 v[2:3], 2, v[24:25]
	v_lshlrev_b64 v[4:5], 2, v[29:30]
	v_add_nc_u32_e32 v29, 0xfa, v24
	v_add_co_ci_u32_e32 v18, vcc_lo, s3, v27, vcc_lo
	ds_read2_b32 v[6:7], v6 offset0:122 offset1:247
	v_add_co_u32 v2, vcc_lo, v17, v2
	v_lshlrev_b64 v[8:9], 2, v[29:30]
	v_add_nc_u32_e32 v29, 0x177, v24
	v_add_co_ci_u32_e32 v3, vcc_lo, v18, v3, vcc_lo
	v_add_co_u32 v4, vcc_lo, v17, v4
	v_lshlrev_b64 v[10:11], 2, v[29:30]
	v_add_co_ci_u32_e32 v5, vcc_lo, v18, v5, vcc_lo
	v_add_nc_u32_e32 v29, 0x1f4, v24
	s_waitcnt lgkmcnt(1)
	global_store_dword v[2:3], v0, off
	v_add_co_u32 v2, vcc_lo, v17, v8
	v_add_co_ci_u32_e32 v3, vcc_lo, v18, v9, vcc_lo
	v_add_co_u32 v8, vcc_lo, v17, v10
	v_add_co_ci_u32_e32 v9, vcc_lo, v18, v11, vcc_lo
	v_add_nc_u32_e32 v0, 0x600, v16
	v_lshlrev_b64 v[10:11], 2, v[29:30]
	v_add_nc_u32_e32 v29, 0x271, v24
	global_store_dword v[4:5], v1, off
	s_waitcnt lgkmcnt(0)
	global_store_dword v[2:3], v6, off
	global_store_dword v[8:9], v7, off
	v_add_nc_u32_e32 v6, 0xa00, v16
	ds_read2_b32 v[0:1], v0 offset0:116 offset1:241
	v_add_nc_u32_e32 v12, 0xe00, v16
	v_lshlrev_b64 v[2:3], 2, v[29:30]
	v_add_nc_u32_e32 v29, 0x2ee, v24
	ds_read2_b32 v[6:7], v6 offset0:110 offset1:235
	v_add_co_u32 v4, vcc_lo, v17, v10
	v_add_co_ci_u32_e32 v5, vcc_lo, v18, v11, vcc_lo
	v_lshlrev_b64 v[8:9], 2, v[29:30]
	v_add_nc_u32_e32 v29, 0x36b, v24
	v_add_co_u32 v2, vcc_lo, v17, v2
	v_add_co_ci_u32_e32 v3, vcc_lo, v18, v3, vcc_lo
	v_lshlrev_b64 v[10:11], 2, v[29:30]
	v_add_nc_u32_e32 v29, 0x3e8, v24
	v_add_co_u32 v8, vcc_lo, v17, v8
	ds_read2_b32 v[12:13], v12 offset0:104 offset1:229
	v_add_co_ci_u32_e32 v9, vcc_lo, v18, v9, vcc_lo
	v_lshlrev_b64 v[14:15], 2, v[29:30]
	v_add_nc_u32_e32 v29, 0x465, v24
	v_add_co_u32 v10, vcc_lo, v17, v10
	v_add_co_ci_u32_e32 v11, vcc_lo, v18, v11, vcc_lo
	s_waitcnt lgkmcnt(2)
	global_store_dword v[4:5], v0, off
	global_store_dword v[2:3], v1, off
	s_waitcnt lgkmcnt(1)
	global_store_dword v[8:9], v6, off
	global_store_dword v[10:11], v7, off
	v_lshlrev_b64 v[0:1], 2, v[29:30]
	v_add_co_u32 v2, vcc_lo, v17, v14
	v_add_co_ci_u32_e32 v3, vcc_lo, v18, v15, vcc_lo
	v_add_nc_u32_e32 v29, 0x4e2, v24
	v_add_co_u32 v0, vcc_lo, v17, v0
	v_add_co_ci_u32_e32 v1, vcc_lo, v18, v1, vcc_lo
	v_add_nc_u32_e32 v6, 0x1200, v16
	v_add_nc_u32_e32 v7, 0x1600, v16
	v_lshlrev_b64 v[4:5], 2, v[29:30]
	v_add_nc_u32_e32 v29, 0x55f, v24
	s_waitcnt lgkmcnt(0)
	global_store_dword v[0:1], v13, off
	ds_read2_b32 v[0:1], v6 offset0:98 offset1:223
	ds_read2_b32 v[6:7], v7 offset0:92 offset1:217
	global_store_dword v[2:3], v12, off
	v_lshlrev_b64 v[2:3], 2, v[29:30]
	v_add_nc_u32_e32 v29, 0x5dc, v24
	v_add_co_u32 v4, vcc_lo, v17, v4
	v_add_co_ci_u32_e32 v5, vcc_lo, v18, v5, vcc_lo
	v_lshlrev_b64 v[8:9], 2, v[29:30]
	v_add_co_u32 v2, vcc_lo, v17, v2
	v_add_co_ci_u32_e32 v3, vcc_lo, v18, v3, vcc_lo
	v_add_nc_u32_e32 v29, 0x659, v24
	v_add_co_u32 v8, vcc_lo, v17, v8
	v_add_nc_u32_e32 v12, 0x1a00, v16
	v_add_co_ci_u32_e32 v9, vcc_lo, v18, v9, vcc_lo
	v_lshlrev_b64 v[10:11], 2, v[29:30]
	v_add_nc_u32_e32 v29, 0x6d6, v24
	s_waitcnt lgkmcnt(1)
	global_store_dword v[4:5], v0, off
	global_store_dword v[2:3], v1, off
	s_waitcnt lgkmcnt(0)
	global_store_dword v[8:9], v6, off
	ds_read2_b32 v[0:1], v12 offset0:86 offset1:211
	v_add_nc_u32_e32 v6, 0x1e00, v16
	v_add_nc_u32_e32 v12, 0x2600, v16
	v_lshlrev_b64 v[2:3], 2, v[29:30]
	v_add_nc_u32_e32 v29, 0x753, v24
	v_add_co_u32 v4, vcc_lo, v17, v10
	v_add_co_ci_u32_e32 v5, vcc_lo, v18, v11, vcc_lo
	v_lshlrev_b64 v[8:9], 2, v[29:30]
	v_add_co_u32 v2, vcc_lo, v17, v2
	v_add_co_ci_u32_e32 v3, vcc_lo, v18, v3, vcc_lo
	v_add_nc_u32_e32 v29, 0x7d0, v24
	v_add_co_u32 v8, vcc_lo, v17, v8
	v_add_co_ci_u32_e32 v9, vcc_lo, v18, v9, vcc_lo
	v_lshlrev_b64 v[10:11], 2, v[29:30]
	v_add_nc_u32_e32 v29, 0x84d, v24
	global_store_dword v[4:5], v7, off
	s_waitcnt lgkmcnt(0)
	global_store_dword v[2:3], v0, off
	global_store_dword v[8:9], v1, off
	ds_read2_b32 v[0:1], v6 offset0:80 offset1:205
	v_add_nc_u32_e32 v6, 0x2200, v16
	ds_read2_b32 v[12:13], v12 offset0:68 offset1:193
	v_lshlrev_b64 v[2:3], 2, v[29:30]
	v_add_nc_u32_e32 v29, 0x8ca, v24
	v_add_co_u32 v4, vcc_lo, v17, v10
	ds_read2_b32 v[6:7], v6 offset0:74 offset1:199
	v_add_co_ci_u32_e32 v5, vcc_lo, v18, v11, vcc_lo
	v_lshlrev_b64 v[8:9], 2, v[29:30]
	v_add_nc_u32_e32 v29, 0x947, v24
	v_add_co_u32 v2, vcc_lo, v17, v2
	v_add_co_ci_u32_e32 v3, vcc_lo, v18, v3, vcc_lo
	v_lshlrev_b64 v[10:11], 2, v[29:30]
	v_add_nc_u32_e32 v29, 0x9c4, v24
	v_add_co_u32 v8, vcc_lo, v17, v8
	;; [unrolled: 4-line block ×3, first 2 shown]
	v_add_co_ci_u32_e32 v11, vcc_lo, v18, v11, vcc_lo
	s_waitcnt lgkmcnt(2)
	global_store_dword v[4:5], v0, off
	global_store_dword v[2:3], v1, off
	s_waitcnt lgkmcnt(0)
	global_store_dword v[8:9], v6, off
	global_store_dword v[10:11], v7, off
	v_lshlrev_b64 v[0:1], 2, v[29:30]
	v_add_co_u32 v2, vcc_lo, v17, v14
	v_add_co_ci_u32_e32 v3, vcc_lo, v18, v15, vcc_lo
	v_add_nc_u32_e32 v29, 0xabe, v24
	v_add_co_u32 v0, vcc_lo, v17, v0
	v_add_co_ci_u32_e32 v1, vcc_lo, v18, v1, vcc_lo
	v_add_nc_u32_e32 v6, 0x2a00, v16
	v_add_nc_u32_e32 v7, 0x2e00, v16
	v_lshlrev_b64 v[4:5], 2, v[29:30]
	v_add_nc_u32_e32 v29, 0xb3b, v24
	global_store_dword v[2:3], v12, off
	global_store_dword v[0:1], v13, off
	ds_read2_b32 v[0:1], v6 offset0:62 offset1:187
	ds_read2_b32 v[6:7], v7 offset0:56 offset1:181
	v_lshlrev_b64 v[2:3], 2, v[29:30]
	v_add_nc_u32_e32 v29, 0xbb8, v24
	v_add_co_u32 v4, vcc_lo, v17, v4
	v_add_co_ci_u32_e32 v5, vcc_lo, v18, v5, vcc_lo
	v_lshlrev_b64 v[8:9], 2, v[29:30]
	v_add_nc_u32_e32 v29, 0xc35, v24
	v_add_co_u32 v2, vcc_lo, v17, v2
	v_add_co_ci_u32_e32 v3, vcc_lo, v18, v3, vcc_lo
	v_add_co_u32 v8, vcc_lo, v17, v8
	v_lshlrev_b64 v[10:11], 2, v[29:30]
	v_add_nc_u32_e32 v29, 0xcb2, v24
	v_add_co_ci_u32_e32 v9, vcc_lo, v18, v9, vcc_lo
	s_waitcnt lgkmcnt(1)
	global_store_dword v[4:5], v0, off
	global_store_dword v[2:3], v1, off
	s_waitcnt lgkmcnt(0)
	global_store_dword v[8:9], v6, off
	v_add_nc_u32_e32 v4, 0x3200, v16
	v_lshlrev_b64 v[0:1], 2, v[29:30]
	v_add_nc_u32_e32 v29, 0xd2f, v24
	v_add_nc_u32_e32 v6, 0x3600, v16
	v_add_co_u32 v2, vcc_lo, v17, v10
	ds_read2_b32 v[4:5], v4 offset0:50 offset1:175
	v_lshlrev_b64 v[8:9], 2, v[29:30]
	v_add_nc_u32_e32 v29, 0xdac, v24
	v_add_co_ci_u32_e32 v3, vcc_lo, v18, v11, vcc_lo
	ds_read2_b32 v[10:11], v6 offset0:44 offset1:169
	v_add_co_u32 v0, vcc_lo, v17, v0
	v_lshlrev_b64 v[12:13], 2, v[29:30]
	v_add_nc_u32_e32 v29, 0xe29, v24
	v_add_co_ci_u32_e32 v1, vcc_lo, v18, v1, vcc_lo
	v_add_co_u32 v8, vcc_lo, v17, v8
	v_lshlrev_b64 v[14:15], 2, v[29:30]
	v_add_co_ci_u32_e32 v9, vcc_lo, v18, v9, vcc_lo
	v_add_co_u32 v12, vcc_lo, v17, v12
	v_add_co_ci_u32_e32 v13, vcc_lo, v18, v13, vcc_lo
	v_add_co_u32 v14, vcc_lo, v17, v14
	v_add_co_ci_u32_e32 v15, vcc_lo, v18, v15, vcc_lo
	global_store_dword v[2:3], v7, off
	s_waitcnt lgkmcnt(1)
	global_store_dword v[0:1], v4, off
	global_store_dword v[8:9], v5, off
	s_waitcnt lgkmcnt(0)
	global_store_dword v[12:13], v10, off
	global_store_dword v[14:15], v11, off
.LBB0_19:
	s_endpgm
	.section	.rodata,"a",@progbits
	.p2align	6, 0x0
	.amdhsa_kernel fft_rtc_back_len3750_factors_3_5_5_10_5_wgs_125_tpt_125_halfLds_half_ip_CI_unitstride_sbrr_C2R_dirReg
		.amdhsa_group_segment_fixed_size 0
		.amdhsa_private_segment_fixed_size 0
		.amdhsa_kernarg_size 88
		.amdhsa_user_sgpr_count 6
		.amdhsa_user_sgpr_private_segment_buffer 1
		.amdhsa_user_sgpr_dispatch_ptr 0
		.amdhsa_user_sgpr_queue_ptr 0
		.amdhsa_user_sgpr_kernarg_segment_ptr 1
		.amdhsa_user_sgpr_dispatch_id 0
		.amdhsa_user_sgpr_flat_scratch_init 0
		.amdhsa_user_sgpr_private_segment_size 0
		.amdhsa_wavefront_size32 1
		.amdhsa_uses_dynamic_stack 0
		.amdhsa_system_sgpr_private_segment_wavefront_offset 0
		.amdhsa_system_sgpr_workgroup_id_x 1
		.amdhsa_system_sgpr_workgroup_id_y 0
		.amdhsa_system_sgpr_workgroup_id_z 0
		.amdhsa_system_sgpr_workgroup_info 0
		.amdhsa_system_vgpr_workitem_id 0
		.amdhsa_next_free_vgpr 142
		.amdhsa_next_free_sgpr 21
		.amdhsa_reserve_vcc 1
		.amdhsa_reserve_flat_scratch 0
		.amdhsa_float_round_mode_32 0
		.amdhsa_float_round_mode_16_64 0
		.amdhsa_float_denorm_mode_32 3
		.amdhsa_float_denorm_mode_16_64 3
		.amdhsa_dx10_clamp 1
		.amdhsa_ieee_mode 1
		.amdhsa_fp16_overflow 0
		.amdhsa_workgroup_processor_mode 1
		.amdhsa_memory_ordered 1
		.amdhsa_forward_progress 0
		.amdhsa_shared_vgpr_count 0
		.amdhsa_exception_fp_ieee_invalid_op 0
		.amdhsa_exception_fp_denorm_src 0
		.amdhsa_exception_fp_ieee_div_zero 0
		.amdhsa_exception_fp_ieee_overflow 0
		.amdhsa_exception_fp_ieee_underflow 0
		.amdhsa_exception_fp_ieee_inexact 0
		.amdhsa_exception_int_div_zero 0
	.end_amdhsa_kernel
	.text
.Lfunc_end0:
	.size	fft_rtc_back_len3750_factors_3_5_5_10_5_wgs_125_tpt_125_halfLds_half_ip_CI_unitstride_sbrr_C2R_dirReg, .Lfunc_end0-fft_rtc_back_len3750_factors_3_5_5_10_5_wgs_125_tpt_125_halfLds_half_ip_CI_unitstride_sbrr_C2R_dirReg
                                        ; -- End function
	.section	.AMDGPU.csdata,"",@progbits
; Kernel info:
; codeLenInByte = 22884
; NumSgprs: 23
; NumVgprs: 142
; ScratchSize: 0
; MemoryBound: 0
; FloatMode: 240
; IeeeMode: 1
; LDSByteSize: 0 bytes/workgroup (compile time only)
; SGPRBlocks: 2
; VGPRBlocks: 17
; NumSGPRsForWavesPerEU: 23
; NumVGPRsForWavesPerEU: 142
; Occupancy: 7
; WaveLimiterHint : 1
; COMPUTE_PGM_RSRC2:SCRATCH_EN: 0
; COMPUTE_PGM_RSRC2:USER_SGPR: 6
; COMPUTE_PGM_RSRC2:TRAP_HANDLER: 0
; COMPUTE_PGM_RSRC2:TGID_X_EN: 1
; COMPUTE_PGM_RSRC2:TGID_Y_EN: 0
; COMPUTE_PGM_RSRC2:TGID_Z_EN: 0
; COMPUTE_PGM_RSRC2:TIDIG_COMP_CNT: 0
	.text
	.p2alignl 6, 3214868480
	.fill 48, 4, 3214868480
	.type	__hip_cuid_7cfc3bd6985eafff,@object ; @__hip_cuid_7cfc3bd6985eafff
	.section	.bss,"aw",@nobits
	.globl	__hip_cuid_7cfc3bd6985eafff
__hip_cuid_7cfc3bd6985eafff:
	.byte	0                               ; 0x0
	.size	__hip_cuid_7cfc3bd6985eafff, 1

	.ident	"AMD clang version 19.0.0git (https://github.com/RadeonOpenCompute/llvm-project roc-6.4.0 25133 c7fe45cf4b819c5991fe208aaa96edf142730f1d)"
	.section	".note.GNU-stack","",@progbits
	.addrsig
	.addrsig_sym __hip_cuid_7cfc3bd6985eafff
	.amdgpu_metadata
---
amdhsa.kernels:
  - .args:
      - .actual_access:  read_only
        .address_space:  global
        .offset:         0
        .size:           8
        .value_kind:     global_buffer
      - .offset:         8
        .size:           8
        .value_kind:     by_value
      - .actual_access:  read_only
        .address_space:  global
        .offset:         16
        .size:           8
        .value_kind:     global_buffer
      - .actual_access:  read_only
        .address_space:  global
        .offset:         24
        .size:           8
        .value_kind:     global_buffer
      - .offset:         32
        .size:           8
        .value_kind:     by_value
      - .actual_access:  read_only
        .address_space:  global
        .offset:         40
        .size:           8
        .value_kind:     global_buffer
      - .actual_access:  read_only
        .address_space:  global
        .offset:         48
        .size:           8
        .value_kind:     global_buffer
      - .offset:         56
        .size:           4
        .value_kind:     by_value
      - .actual_access:  read_only
        .address_space:  global
        .offset:         64
        .size:           8
        .value_kind:     global_buffer
      - .actual_access:  read_only
        .address_space:  global
        .offset:         72
        .size:           8
        .value_kind:     global_buffer
      - .address_space:  global
        .offset:         80
        .size:           8
        .value_kind:     global_buffer
    .group_segment_fixed_size: 0
    .kernarg_segment_align: 8
    .kernarg_segment_size: 88
    .language:       OpenCL C
    .language_version:
      - 2
      - 0
    .max_flat_workgroup_size: 125
    .name:           fft_rtc_back_len3750_factors_3_5_5_10_5_wgs_125_tpt_125_halfLds_half_ip_CI_unitstride_sbrr_C2R_dirReg
    .private_segment_fixed_size: 0
    .sgpr_count:     23
    .sgpr_spill_count: 0
    .symbol:         fft_rtc_back_len3750_factors_3_5_5_10_5_wgs_125_tpt_125_halfLds_half_ip_CI_unitstride_sbrr_C2R_dirReg.kd
    .uniform_work_group_size: 1
    .uses_dynamic_stack: false
    .vgpr_count:     142
    .vgpr_spill_count: 0
    .wavefront_size: 32
    .workgroup_processor_mode: 1
amdhsa.target:   amdgcn-amd-amdhsa--gfx1030
amdhsa.version:
  - 1
  - 2
...

	.end_amdgpu_metadata
